;; amdgpu-corpus repo=ROCm/rocFFT kind=compiled arch=gfx950 opt=O3
	.text
	.amdgcn_target "amdgcn-amd-amdhsa--gfx950"
	.amdhsa_code_object_version 6
	.protected	fft_rtc_fwd_len595_factors_7_17_5_wgs_51_tpt_17_halfLds_dp_ip_CI_sbrr_dirReg ; -- Begin function fft_rtc_fwd_len595_factors_7_17_5_wgs_51_tpt_17_halfLds_dp_ip_CI_sbrr_dirReg
	.globl	fft_rtc_fwd_len595_factors_7_17_5_wgs_51_tpt_17_halfLds_dp_ip_CI_sbrr_dirReg
	.p2align	8
	.type	fft_rtc_fwd_len595_factors_7_17_5_wgs_51_tpt_17_halfLds_dp_ip_CI_sbrr_dirReg,@function
fft_rtc_fwd_len595_factors_7_17_5_wgs_51_tpt_17_halfLds_dp_ip_CI_sbrr_dirReg: ; @fft_rtc_fwd_len595_factors_7_17_5_wgs_51_tpt_17_halfLds_dp_ip_CI_sbrr_dirReg
; %bb.0:
	s_load_dwordx2 s[12:13], s[0:1], 0x18
	s_load_dwordx4 s[4:7], s[0:1], 0x0
	s_load_dwordx2 s[10:11], s[0:1], 0x50
	v_mul_u32_u24_e32 v1, 0xf10, v0
	v_lshrrev_b32_e32 v2, 16, v1
	s_waitcnt lgkmcnt(0)
	s_load_dwordx2 s[8:9], s[12:13], 0x0
	v_mad_u64_u32 v[4:5], s[2:3], s2, 3, v[2:3]
	v_mov_b32_e32 v6, 0
	v_mov_b32_e32 v5, v6
	v_cmp_lt_u64_e64 s[2:3], s[6:7], 2
	s_and_b64 vcc, exec, s[2:3]
	v_mov_b64_e32 v[2:3], 0
	v_mov_b64_e32 v[10:11], v[4:5]
	s_cbranch_vccnz .LBB0_8
; %bb.1:
	s_load_dwordx2 s[2:3], s[0:1], 0x10
	s_add_u32 s14, s12, 8
	s_addc_u32 s15, s13, 0
	s_mov_b64 s[16:17], 1
	v_mov_b64_e32 v[2:3], 0
	s_waitcnt lgkmcnt(0)
	s_add_u32 s18, s2, 8
	s_addc_u32 s19, s3, 0
	v_mov_b64_e32 v[8:9], v[4:5]
.LBB0_2:                                ; =>This Inner Loop Header: Depth=1
	s_load_dwordx2 s[20:21], s[18:19], 0x0
                                        ; implicit-def: $vgpr10_vgpr11
	s_waitcnt lgkmcnt(0)
	v_or_b32_e32 v7, s21, v9
	v_cmp_ne_u64_e32 vcc, 0, v[6:7]
	s_and_saveexec_b64 s[2:3], vcc
	s_xor_b64 s[22:23], exec, s[2:3]
	s_cbranch_execz .LBB0_4
; %bb.3:                                ;   in Loop: Header=BB0_2 Depth=1
	v_cvt_f32_u32_e32 v1, s20
	v_cvt_f32_u32_e32 v5, s21
	s_sub_u32 s2, 0, s20
	s_subb_u32 s3, 0, s21
	v_fmac_f32_e32 v1, 0x4f800000, v5
	v_rcp_f32_e32 v1, v1
	s_nop 0
	v_mul_f32_e32 v1, 0x5f7ffffc, v1
	v_mul_f32_e32 v5, 0x2f800000, v1
	v_trunc_f32_e32 v5, v5
	v_fmac_f32_e32 v1, 0xcf800000, v5
	v_cvt_u32_f32_e32 v5, v5
	v_cvt_u32_f32_e32 v1, v1
	v_mul_lo_u32 v7, s2, v5
	v_mul_hi_u32 v10, s2, v1
	v_mul_lo_u32 v11, s3, v1
	v_add_u32_e32 v7, v10, v7
	v_mul_lo_u32 v14, s2, v1
	v_add_u32_e32 v7, v7, v11
	v_mul_hi_u32 v10, v1, v14
	v_mul_hi_u32 v13, v1, v7
	v_mul_lo_u32 v12, v1, v7
	v_mov_b32_e32 v11, v6
	v_lshl_add_u64 v[10:11], v[10:11], 0, v[12:13]
	v_mul_hi_u32 v13, v5, v14
	v_mul_lo_u32 v14, v5, v14
	v_add_co_u32_e32 v10, vcc, v10, v14
	v_mul_hi_u32 v12, v5, v7
	s_nop 0
	v_addc_co_u32_e32 v10, vcc, v11, v13, vcc
	v_mov_b32_e32 v11, v6
	s_nop 0
	v_addc_co_u32_e32 v13, vcc, 0, v12, vcc
	v_mul_lo_u32 v12, v5, v7
	v_lshl_add_u64 v[10:11], v[10:11], 0, v[12:13]
	v_add_co_u32_e32 v1, vcc, v1, v10
	v_mul_hi_u32 v10, s2, v1
	s_nop 0
	v_addc_co_u32_e32 v5, vcc, v5, v11, vcc
	v_mul_lo_u32 v7, s2, v5
	v_add_u32_e32 v7, v10, v7
	v_mul_lo_u32 v10, s3, v1
	v_add_u32_e32 v7, v7, v10
	v_mul_lo_u32 v12, s2, v1
	v_mul_hi_u32 v15, v5, v12
	v_mul_lo_u32 v16, v5, v12
	v_mul_hi_u32 v11, v1, v7
	;; [unrolled: 2-line block ×3, first 2 shown]
	v_mov_b32_e32 v13, v6
	v_lshl_add_u64 v[10:11], v[12:13], 0, v[10:11]
	v_add_co_u32_e32 v10, vcc, v10, v16
	v_mul_hi_u32 v14, v5, v7
	s_nop 0
	v_addc_co_u32_e32 v10, vcc, v11, v15, vcc
	v_mul_lo_u32 v12, v5, v7
	s_nop 0
	v_addc_co_u32_e32 v13, vcc, 0, v14, vcc
	v_mov_b32_e32 v11, v6
	v_lshl_add_u64 v[10:11], v[10:11], 0, v[12:13]
	v_add_co_u32_e32 v1, vcc, v1, v10
	v_mul_hi_u32 v12, v8, v1
	s_nop 0
	v_addc_co_u32_e32 v5, vcc, v5, v11, vcc
	v_mad_u64_u32 v[10:11], s[2:3], v8, v5, 0
	v_mov_b32_e32 v13, v6
	v_lshl_add_u64 v[10:11], v[12:13], 0, v[10:11]
	v_mad_u64_u32 v[14:15], s[2:3], v9, v1, 0
	v_add_co_u32_e32 v1, vcc, v10, v14
	v_mad_u64_u32 v[12:13], s[2:3], v9, v5, 0
	s_nop 0
	v_addc_co_u32_e32 v10, vcc, v11, v15, vcc
	v_mov_b32_e32 v11, v6
	s_nop 0
	v_addc_co_u32_e32 v13, vcc, 0, v13, vcc
	v_lshl_add_u64 v[10:11], v[10:11], 0, v[12:13]
	v_mul_lo_u32 v1, s21, v10
	v_mul_lo_u32 v5, s20, v11
	v_mad_u64_u32 v[12:13], s[2:3], s20, v10, 0
	v_add3_u32 v1, v13, v5, v1
	v_sub_u32_e32 v5, v9, v1
	v_mov_b32_e32 v7, s21
	v_sub_co_u32_e32 v16, vcc, v8, v12
	v_lshl_add_u64 v[14:15], v[10:11], 0, 1
	s_nop 0
	v_subb_co_u32_e64 v5, s[2:3], v5, v7, vcc
	v_subrev_co_u32_e64 v7, s[2:3], s20, v16
	v_subb_co_u32_e32 v1, vcc, v9, v1, vcc
	s_nop 0
	v_subbrev_co_u32_e64 v5, s[2:3], 0, v5, s[2:3]
	v_cmp_le_u32_e64 s[2:3], s21, v5
	v_cmp_le_u32_e32 vcc, s21, v1
	s_nop 0
	v_cndmask_b32_e64 v12, 0, -1, s[2:3]
	v_cmp_le_u32_e64 s[2:3], s20, v7
	s_nop 1
	v_cndmask_b32_e64 v7, 0, -1, s[2:3]
	v_cmp_eq_u32_e64 s[2:3], s21, v5
	s_nop 1
	v_cndmask_b32_e64 v5, v12, v7, s[2:3]
	v_lshl_add_u64 v[12:13], v[10:11], 0, 2
	v_cmp_ne_u32_e64 s[2:3], 0, v5
	v_cndmask_b32_e64 v7, 0, -1, vcc
	v_cmp_le_u32_e32 vcc, s20, v16
	v_cndmask_b32_e64 v5, v15, v13, s[2:3]
	s_nop 0
	v_cndmask_b32_e64 v13, 0, -1, vcc
	v_cmp_eq_u32_e32 vcc, s21, v1
	s_nop 1
	v_cndmask_b32_e32 v1, v7, v13, vcc
	v_cmp_ne_u32_e32 vcc, 0, v1
	v_cndmask_b32_e64 v1, v14, v12, s[2:3]
	s_nop 0
	v_cndmask_b32_e32 v11, v11, v5, vcc
	v_cndmask_b32_e32 v10, v10, v1, vcc
.LBB0_4:                                ;   in Loop: Header=BB0_2 Depth=1
	s_andn2_saveexec_b64 s[2:3], s[22:23]
	s_cbranch_execz .LBB0_6
; %bb.5:                                ;   in Loop: Header=BB0_2 Depth=1
	v_cvt_f32_u32_e32 v1, s20
	s_sub_i32 s22, 0, s20
	v_mov_b32_e32 v11, v6
	v_rcp_iflag_f32_e32 v1, v1
	s_nop 0
	v_mul_f32_e32 v1, 0x4f7ffffe, v1
	v_cvt_u32_f32_e32 v1, v1
	v_mul_lo_u32 v5, s22, v1
	v_mul_hi_u32 v5, v1, v5
	v_add_u32_e32 v1, v1, v5
	v_mul_hi_u32 v1, v8, v1
	v_mul_lo_u32 v5, v1, s20
	v_sub_u32_e32 v5, v8, v5
	v_add_u32_e32 v7, 1, v1
	v_subrev_u32_e32 v10, s20, v5
	v_cmp_le_u32_e32 vcc, s20, v5
	s_nop 1
	v_cndmask_b32_e32 v5, v5, v10, vcc
	v_cndmask_b32_e32 v1, v1, v7, vcc
	v_add_u32_e32 v7, 1, v1
	v_cmp_le_u32_e32 vcc, s20, v5
	s_nop 1
	v_cndmask_b32_e32 v10, v1, v7, vcc
.LBB0_6:                                ;   in Loop: Header=BB0_2 Depth=1
	s_or_b64 exec, exec, s[2:3]
	v_mad_u64_u32 v[12:13], s[2:3], v10, s20, 0
	s_load_dwordx2 s[2:3], s[14:15], 0x0
	s_add_u32 s16, s16, 1
	v_mul_lo_u32 v1, v11, s20
	v_mul_lo_u32 v5, v10, s21
	s_addc_u32 s17, s17, 0
	v_add3_u32 v1, v13, v5, v1
	v_sub_co_u32_e32 v5, vcc, v8, v12
	s_add_u32 s14, s14, 8
	s_nop 0
	v_subb_co_u32_e32 v1, vcc, v9, v1, vcc
	s_addc_u32 s15, s15, 0
	v_mov_b64_e32 v[8:9], s[6:7]
	s_waitcnt lgkmcnt(0)
	v_mul_lo_u32 v1, s2, v1
	v_mul_lo_u32 v7, s3, v5
	v_mad_u64_u32 v[2:3], s[2:3], s2, v5, v[2:3]
	s_add_u32 s18, s18, 8
	v_cmp_ge_u64_e32 vcc, s[16:17], v[8:9]
	v_add3_u32 v3, v7, v3, v1
	s_addc_u32 s19, s19, 0
	s_cbranch_vccnz .LBB0_8
; %bb.7:                                ;   in Loop: Header=BB0_2 Depth=1
	v_mov_b64_e32 v[8:9], v[10:11]
	s_branch .LBB0_2
.LBB0_8:
	s_lshl_b64 s[2:3], s[6:7], 3
	s_add_u32 s2, s12, s2
	s_addc_u32 s3, s13, s3
	s_load_dwordx2 s[6:7], s[2:3], 0x0
	s_load_dwordx2 s[12:13], s[0:1], 0x20
	s_mov_b32 s2, 0xf0f0f10
                                        ; implicit-def: $vgpr236
                                        ; implicit-def: $vgpr246
                                        ; implicit-def: $vgpr114
                                        ; implicit-def: $vgpr115
	s_waitcnt lgkmcnt(0)
	v_mul_lo_u32 v1, s6, v11
	v_mul_lo_u32 v5, s7, v10
	v_mad_u64_u32 v[2:3], s[0:1], s6, v10, v[2:3]
	v_add3_u32 v3, v5, v3, v1
	v_mul_hi_u32 v1, v0, s2
	v_mul_u32_u24_e32 v1, 17, v1
	v_sub_u32_e32 v252, v0, v1
	v_add_u32_e32 v0, 17, v252
	v_accvgpr_write_b32 a2, v0
	v_add_u32_e32 v0, 34, v252
	v_accvgpr_write_b32 a1, v0
	v_add_u32_e32 v0, 51, v252
	v_cmp_gt_u64_e32 vcc, s[12:13], v[10:11]
	v_cmp_le_u64_e64 s[0:1], s[12:13], v[10:11]
	v_accvgpr_write_b32 a0, v0
	s_and_saveexec_b64 s[2:3], s[0:1]
	s_xor_b64 s[0:1], exec, s[2:3]
; %bb.9:
	v_add_u32_e32 v236, 17, v252
	v_add_u32_e32 v246, 34, v252
	;; [unrolled: 1-line block ×4, first 2 shown]
; %bb.10:
	s_or_saveexec_b64 s[0:1], s[0:1]
	v_lshl_add_u64 v[230:231], v[2:3], 4, s[10:11]
                                        ; implicit-def: $vgpr112_vgpr113
                                        ; implicit-def: $vgpr104_vgpr105
                                        ; implicit-def: $vgpr96_vgpr97
                                        ; implicit-def: $vgpr92_vgpr93
                                        ; implicit-def: $vgpr100_vgpr101
                                        ; implicit-def: $vgpr108_vgpr109
                                        ; implicit-def: $vgpr88_vgpr89
                                        ; implicit-def: $vgpr146_vgpr147
                                        ; implicit-def: $vgpr138_vgpr139
                                        ; implicit-def: $vgpr130_vgpr131
                                        ; implicit-def: $vgpr126_vgpr127
                                        ; implicit-def: $vgpr134_vgpr135
                                        ; implicit-def: $vgpr142_vgpr143
                                        ; implicit-def: $vgpr118_vgpr119
                                        ; implicit-def: $vgpr176_vgpr177
                                        ; implicit-def: $vgpr168_vgpr169
                                        ; implicit-def: $vgpr160_vgpr161
                                        ; implicit-def: $vgpr156_vgpr157
                                        ; implicit-def: $vgpr164_vgpr165
                                        ; implicit-def: $vgpr172_vgpr173
                                        ; implicit-def: $vgpr152_vgpr153
                                        ; implicit-def: $vgpr208_vgpr209
                                        ; implicit-def: $vgpr200_vgpr201
                                        ; implicit-def: $vgpr192_vgpr193
                                        ; implicit-def: $vgpr188_vgpr189
                                        ; implicit-def: $vgpr196_vgpr197
                                        ; implicit-def: $vgpr204_vgpr205
                                        ; implicit-def: $vgpr180_vgpr181
                                        ; implicit-def: $vgpr220_vgpr221
                                        ; implicit-def: $vgpr62_vgpr63
                                        ; implicit-def: $vgpr58_vgpr59
                                        ; implicit-def: $vgpr50_vgpr51
                                        ; implicit-def: $vgpr54_vgpr55
                                        ; implicit-def: $vgpr34_vgpr35
                                        ; implicit-def: $vgpr2_vgpr3
	s_xor_b64 exec, exec, s[0:1]
	s_cbranch_execz .LBB0_12
; %bb.11:
	v_mad_u64_u32 v[0:1], s[2:3], s8, v252, 0
	v_mov_b32_e32 v2, v1
	v_mad_u64_u32 v[2:3], s[2:3], s9, v252, v[2:3]
	v_mov_b32_e32 v1, v2
	v_add_u32_e32 v3, 0x55, v252
	v_lshl_add_u64 v[6:7], v[0:1], 4, v[230:231]
	v_mad_u64_u32 v[0:1], s[2:3], s8, v3, 0
	v_mov_b32_e32 v2, v1
	v_mad_u64_u32 v[2:3], s[2:3], s9, v3, v[2:3]
	v_mov_b32_e32 v1, v2
	v_add_u32_e32 v5, 0xaa, v252
	v_lshl_add_u64 v[8:9], v[0:1], 4, v[230:231]
	global_load_dwordx4 v[0:3], v[6:7], off
	global_load_dwordx4 v[32:35], v[8:9], off
	v_mad_u64_u32 v[6:7], s[2:3], s8, v5, 0
	v_mov_b32_e32 v8, v7
	v_mad_u64_u32 v[8:9], s[2:3], s9, v5, v[8:9]
	v_add_u32_e32 v5, 0xff, v252
	v_mov_b32_e32 v7, v8
	v_mad_u64_u32 v[8:9], s[2:3], s8, v5, 0
	v_mov_b32_e32 v10, v9
	v_mad_u64_u32 v[10:11], s[2:3], s9, v5, v[10:11]
	v_lshl_add_u64 v[6:7], v[6:7], 4, v[230:231]
	v_mov_b32_e32 v9, v10
	v_add_u32_e32 v5, 0x154, v252
	v_lshl_add_u64 v[8:9], v[8:9], 4, v[230:231]
	global_load_dwordx4 v[52:55], v[6:7], off
	global_load_dwordx4 v[48:51], v[8:9], off
	v_mad_u64_u32 v[6:7], s[2:3], s8, v5, 0
	v_mov_b32_e32 v8, v7
	v_mad_u64_u32 v[8:9], s[2:3], s9, v5, v[8:9]
	v_add_u32_e32 v5, 0x1a9, v252
	v_mov_b32_e32 v7, v8
	v_mad_u64_u32 v[8:9], s[2:3], s8, v5, 0
	v_mov_b32_e32 v10, v9
	v_mad_u64_u32 v[10:11], s[2:3], s9, v5, v[10:11]
	v_lshl_add_u64 v[6:7], v[6:7], 4, v[230:231]
	v_mov_b32_e32 v9, v10
	v_add_u32_e32 v5, 0x1fe, v252
	v_lshl_add_u64 v[8:9], v[8:9], 4, v[230:231]
	global_load_dwordx4 v[56:59], v[6:7], off
	global_load_dwordx4 v[60:63], v[8:9], off
	v_mad_u64_u32 v[6:7], s[2:3], s8, v5, 0
	v_mov_b32_e32 v8, v7
	v_mad_u64_u32 v[8:9], s[2:3], s9, v5, v[8:9]
	v_accvgpr_read_b32 v236, a2
	v_mov_b32_e32 v7, v8
	v_mad_u64_u32 v[8:9], s[2:3], s8, v236, 0
	v_mov_b32_e32 v10, v9
	v_mad_u64_u32 v[10:11], s[2:3], s9, v236, v[10:11]
	v_add_u32_e32 v5, 0x66, v252
	v_mov_b32_e32 v9, v10
	v_mad_u64_u32 v[10:11], s[2:3], s8, v5, 0
	v_mov_b32_e32 v12, v11
	v_mad_u64_u32 v[12:13], s[2:3], s9, v5, v[12:13]
	v_add_u32_e32 v5, 0xbb, v252
	v_mov_b32_e32 v11, v12
	v_mad_u64_u32 v[12:13], s[2:3], s8, v5, 0
	v_mov_b32_e32 v14, v13
	v_mad_u64_u32 v[14:15], s[2:3], s9, v5, v[14:15]
	v_add_u32_e32 v5, 0x110, v252
	v_mov_b32_e32 v13, v14
	v_mad_u64_u32 v[14:15], s[2:3], s8, v5, 0
	v_mov_b32_e32 v16, v15
	v_mad_u64_u32 v[16:17], s[2:3], s9, v5, v[16:17]
	v_add_u32_e32 v5, 0x165, v252
	v_mov_b32_e32 v15, v16
	v_mad_u64_u32 v[16:17], s[2:3], s8, v5, 0
	v_mov_b32_e32 v18, v17
	v_mad_u64_u32 v[18:19], s[2:3], s9, v5, v[18:19]
	v_add_u32_e32 v5, 0x1ba, v252
	v_mov_b32_e32 v17, v18
	v_mad_u64_u32 v[18:19], s[2:3], s8, v5, 0
	v_mov_b32_e32 v20, v19
	v_mad_u64_u32 v[20:21], s[2:3], s9, v5, v[20:21]
	v_add_u32_e32 v5, 0x20f, v252
	v_mov_b32_e32 v19, v20
	v_mad_u64_u32 v[20:21], s[2:3], s8, v5, 0
	v_mov_b32_e32 v22, v21
	v_mad_u64_u32 v[22:23], s[2:3], s9, v5, v[22:23]
	v_accvgpr_read_b32 v254, a1
	v_mov_b32_e32 v21, v22
	v_mad_u64_u32 v[22:23], s[2:3], s8, v254, 0
	v_mov_b32_e32 v24, v23
	v_mad_u64_u32 v[24:25], s[2:3], s9, v254, v[24:25]
	v_add_u32_e32 v5, 0x77, v252
	v_mov_b32_e32 v23, v24
	v_mad_u64_u32 v[24:25], s[2:3], s8, v5, 0
	v_mov_b32_e32 v26, v25
	v_mad_u64_u32 v[26:27], s[2:3], s9, v5, v[26:27]
	v_add_u32_e32 v5, 0xcc, v252
	;; [unrolled: 5-line block ×5, first 2 shown]
	v_mov_b32_e32 v31, v36
	v_mad_u64_u32 v[36:37], s[2:3], s8, v5, 0
	v_mov_b32_e32 v38, v37
	v_mad_u64_u32 v[38:39], s[2:3], s9, v5, v[38:39]
	v_or_b32_e32 v5, 0x220, v252
	v_mov_b32_e32 v37, v38
	v_mad_u64_u32 v[38:39], s[2:3], s8, v5, 0
	v_mov_b32_e32 v40, v39
	v_mad_u64_u32 v[40:41], s[2:3], s9, v5, v[40:41]
	v_accvgpr_read_b32 v114, a0
	v_mov_b32_e32 v39, v40
	v_mad_u64_u32 v[40:41], s[2:3], s8, v114, 0
	v_mov_b32_e32 v42, v41
	v_mad_u64_u32 v[42:43], s[2:3], s9, v114, v[42:43]
	v_add_u32_e32 v5, 0x88, v252
	v_mov_b32_e32 v41, v42
	v_mad_u64_u32 v[42:43], s[2:3], s8, v5, 0
	v_mov_b32_e32 v44, v43
	v_mad_u64_u32 v[44:45], s[2:3], s9, v5, v[44:45]
	v_add_u32_e32 v5, 0xdd, v252
	;; [unrolled: 5-line block ×13, first 2 shown]
	v_mov_b32_e32 v81, v82
	v_mad_u64_u32 v[82:83], s[2:3], s8, v5, 0
	v_mov_b32_e32 v84, v83
	v_mad_u64_u32 v[84:85], s[2:3], s9, v5, v[84:85]
	v_lshl_add_u64 v[6:7], v[6:7], 4, v[230:231]
	v_mov_b32_e32 v83, v84
	v_lshl_add_u64 v[8:9], v[8:9], 4, v[230:231]
	v_lshl_add_u64 v[10:11], v[10:11], 4, v[230:231]
	;; [unrolled: 1-line block ×28, first 2 shown]
	global_load_dwordx4 v[218:221], v[6:7], off
	global_load_dwordx4 v[178:181], v[8:9], off
	;; [unrolled: 1-line block ×9, first 2 shown]
                                        ; kill: killed $vgpr12_vgpr13
                                        ; kill: killed $vgpr22_vgpr23
                                        ; kill: killed $vgpr18_vgpr19
                                        ; kill: killed $vgpr10_vgpr11
                                        ; kill: killed $vgpr6_vgpr7
                                        ; kill: killed $vgpr16_vgpr17
                                        ; kill: killed $vgpr8_vgpr9
                                        ; kill: killed $vgpr14_vgpr15
                                        ; kill: killed $vgpr20_vgpr21
	global_load_dwordx4 v[170:173], v[24:25], off
	global_load_dwordx4 v[162:165], v[26:27], off
	;; [unrolled: 1-line block ×5, first 2 shown]
                                        ; kill: killed $vgpr28_vgpr29
                                        ; kill: killed $vgpr26_vgpr27
                                        ; kill: killed $vgpr36_vgpr37
                                        ; kill: killed $vgpr24_vgpr25
                                        ; kill: killed $vgpr30_vgpr31
	global_load_dwordx4 v[174:177], v[38:39], off
	global_load_dwordx4 v[116:119], v[40:41], off
                                        ; kill: killed $vgpr38_vgpr39
                                        ; kill: killed $vgpr40_vgpr41
	global_load_dwordx4 v[140:143], v[42:43], off
	global_load_dwordx4 v[132:135], v[44:45], off
	global_load_dwordx4 v[124:127], v[46:47], off
	global_load_dwordx4 v[128:131], v[64:65], off
	global_load_dwordx4 v[136:139], v[66:67], off
	global_load_dwordx4 v[144:147], v[68:69], off
	global_load_dwordx4 v[86:89], v[70:71], off
	global_load_dwordx4 v[106:109], v[72:73], off
	global_load_dwordx4 v[98:101], v[74:75], off
	global_load_dwordx4 v[90:93], v[76:77], off
	global_load_dwordx4 v[94:97], v[78:79], off
	global_load_dwordx4 v[102:105], v[80:81], off
	global_load_dwordx4 v[110:113], v[82:83], off
	v_accvgpr_read_b32 v246, a1
.LBB0_12:
	s_or_b64 exec, exec, s[0:1]
	s_mov_b32 s0, 0xaaaaaaab
	v_mul_hi_u32 v5, v4, s0
	v_lshrrev_b32_e32 v5, 1, v5
	v_lshl_add_u32 v5, v5, 1, v5
	v_sub_u32_e32 v24, v4, v5
	s_waitcnt vmcnt(28)
	v_add_f64 v[4:5], v[218:219], v[32:33]
	v_add_f64 v[8:9], v[60:61], v[52:53]
	;; [unrolled: 1-line block ×4, first 2 shown]
	v_add_f64 v[10:11], v[54:55], -v[62:63]
	v_add_f64 v[14:15], v[58:59], -v[50:51]
	;; [unrolled: 1-line block ×5, first 2 shown]
	v_add_f64 v[12:13], v[12:13], v[16:17]
	v_add_f64 v[6:7], v[34:35], -v[220:221]
	v_add_f64 v[20:21], v[14:15], v[10:11]
	v_add_f64 v[0:1], v[0:1], v[12:13]
	s_mov_b32 s2, 0xaaaaaaaa
	s_mov_b32 s12, 0x37e14327
	;; [unrolled: 1-line block ×3, first 2 shown]
	v_add_f64 v[16:17], v[14:15], -v[10:11]
	v_add_f64 v[14:15], v[6:7], -v[14:15]
	;; [unrolled: 1-line block ×3, first 2 shown]
	v_add_f64 v[6:7], v[20:21], v[6:7]
	s_mov_b32 s3, 0xbff2aaaa
	v_mov_b64_e32 v[20:21], v[0:1]
	s_mov_b32 s13, 0x3fe948f6
	s_mov_b32 s7, 0x3fac98ee
	;; [unrolled: 1-line block ×5, first 2 shown]
	v_fmac_f64_e32 v[20:21], s[2:3], v[12:13]
	v_mul_f64 v[4:5], v[4:5], s[12:13]
	s_mov_b32 s11, 0x3fe77f67
	v_mul_f64 v[12:13], v[8:9], s[6:7]
	s_mov_b32 s15, 0xbfe77f67
	s_mov_b32 s14, s10
	;; [unrolled: 1-line block ×5, first 2 shown]
	v_fma_f64 v[12:13], v[18:19], s[10:11], -v[12:13]
	v_fma_f64 v[18:19], v[18:19], s[14:15], -v[4:5]
	v_fmac_f64_e32 v[4:5], s[6:7], v[8:9]
	v_mul_f64 v[16:17], v[16:17], s[20:21]
	s_mov_b32 s17, 0x3fd5d0dc
	v_mul_f64 v[8:9], v[10:11], s[18:19]
	s_mov_b32 s25, 0xbfd5d0dc
	s_mov_b32 s24, s16
	v_mul_u32_u24_e32 v24, 0x253, v24
	s_mov_b32 s22, 0x37c3f68c
	v_fma_f64 v[22:23], v[10:11], s[18:19], -v[16:17]
	v_fmac_f64_e32 v[16:17], s[16:17], v[14:15]
	v_fma_f64 v[8:9], v[14:15], s[24:25], -v[8:9]
	s_mov_b32 s23, 0x3fdc38aa
	v_lshlrev_b32_e32 v26, 3, v24
	v_add_f64 v[4:5], v[4:5], v[20:21]
	v_add_f64 v[12:13], v[12:13], v[20:21]
	;; [unrolled: 1-line block ×3, first 2 shown]
	v_fmac_f64_e32 v[16:17], s[22:23], v[6:7]
	v_fmac_f64_e32 v[22:23], s[22:23], v[6:7]
	v_fmac_f64_e32 v[8:9], s[22:23], v[6:7]
	v_add_u32_e32 v237, 0, v26
	v_add_f64 v[18:19], v[16:17], v[4:5]
	v_add_f64 v[10:11], v[12:13], -v[22:23]
	v_add_f64 v[6:7], v[22:23], v[12:13]
	v_add_f64 v[12:13], v[8:9], v[14:15]
	v_add_f64 v[8:9], v[14:15], -v[8:9]
	v_add_f64 v[4:5], v[4:5], -v[16:17]
	s_waitcnt vmcnt(21)
	v_add_f64 v[14:15], v[206:207], v[202:203]
	v_mad_u32_u24 v238, v252, 56, v237
	v_add_f64 v[16:17], v[198:199], v[194:195]
	ds_write2_b64 v238, v[12:13], v[10:11] offset0:2 offset1:3
	v_add_f64 v[12:13], v[190:191], v[186:187]
	ds_write2_b64 v238, v[6:7], v[8:9] offset0:4 offset1:5
	v_add_f64 v[6:7], v[16:17], v[14:15]
	v_add_f64 v[10:11], v[196:197], -v[200:201]
	v_add_f64 v[8:9], v[16:17], -v[14:15]
	;; [unrolled: 1-line block ×4, first 2 shown]
	v_add_f64 v[6:7], v[12:13], v[6:7]
	v_add_f64 v[12:13], v[192:193], -v[188:189]
	ds_write2_b64 v238, v[0:1], v[18:19] offset1:1
	v_add_f64 v[0:1], v[204:205], -v[208:209]
	v_add_f64 v[18:19], v[12:13], v[10:11]
	v_add_f64 v[20:21], v[12:13], -v[10:11]
	v_add_f64 v[12:13], v[0:1], -v[12:13]
	;; [unrolled: 1-line block ×3, first 2 shown]
	v_add_f64 v[0:1], v[18:19], v[0:1]
	v_add_f64 v[18:19], v[178:179], v[6:7]
	v_mov_b64_e32 v[22:23], v[18:19]
	v_fmac_f64_e32 v[22:23], s[2:3], v[6:7]
	v_mul_f64 v[6:7], v[14:15], s[12:13]
	v_mul_f64 v[14:15], v[16:17], s[6:7]
	v_fma_f64 v[14:15], v[8:9], s[10:11], -v[14:15]
	v_fma_f64 v[8:9], v[8:9], s[14:15], -v[6:7]
	v_fmac_f64_e32 v[6:7], s[6:7], v[16:17]
	v_mul_f64 v[16:17], v[20:21], s[20:21]
	v_mul_f64 v[20:21], v[10:11], s[18:19]
	v_fma_f64 v[10:11], v[10:11], s[18:19], -v[16:17]
	v_fmac_f64_e32 v[16:17], s[16:17], v[12:13]
	v_fma_f64 v[12:13], v[12:13], s[24:25], -v[20:21]
	v_add_f64 v[14:15], v[14:15], v[22:23]
	v_add_f64 v[8:9], v[8:9], v[22:23]
	v_fmac_f64_e32 v[10:11], s[22:23], v[0:1]
	v_fmac_f64_e32 v[12:13], s[22:23], v[0:1]
	;; [unrolled: 1-line block ×3, first 2 shown]
	v_add_f64 v[0:1], v[14:15], -v[10:11]
	v_add_f64 v[10:11], v[10:11], v[14:15]
	v_add_f64 v[14:15], v[12:13], v[8:9]
	v_mad_i32_i24 v178, v236, 56, v237
	v_add_f64 v[8:9], v[8:9], -v[12:13]
	ds_write_b64 v238, v[4:5] offset:48
	s_waitcnt vmcnt(14)
	v_add_f64 v[4:5], v[174:175], v[170:171]
	ds_write2_b64 v178, v[14:15], v[0:1] offset0:2 offset1:3
	v_add_f64 v[0:1], v[166:167], v[162:163]
	v_add_f64 v[6:7], v[6:7], v[22:23]
	;; [unrolled: 1-line block ×3, first 2 shown]
	ds_write2_b64 v178, v[10:11], v[8:9] offset0:4 offset1:5
	v_add_f64 v[8:9], v[0:1], v[4:5]
	v_add_f64 v[12:13], v[16:17], v[6:7]
	v_add_f64 v[6:7], v[6:7], -v[16:17]
	v_add_f64 v[10:11], v[0:1], -v[4:5]
	;; [unrolled: 1-line block ×4, first 2 shown]
	v_add_f64 v[8:9], v[14:15], v[8:9]
	v_add_f64 v[14:15], v[164:165], -v[168:169]
	v_add_f64 v[16:17], v[160:161], -v[156:157]
	ds_write2_b64 v178, v[18:19], v[12:13] offset1:1
	v_add_f64 v[12:13], v[172:173], -v[176:177]
	v_add_f64 v[18:19], v[16:17], v[14:15]
	v_add_f64 v[20:21], v[16:17], -v[14:15]
	v_add_f64 v[16:17], v[12:13], -v[16:17]
	;; [unrolled: 1-line block ×3, first 2 shown]
	v_add_f64 v[12:13], v[18:19], v[12:13]
	v_add_f64 v[18:19], v[150:151], v[8:9]
	v_mov_b64_e32 v[22:23], v[18:19]
	v_fmac_f64_e32 v[22:23], s[2:3], v[8:9]
	v_mul_f64 v[4:5], v[4:5], s[12:13]
	v_mul_f64 v[8:9], v[0:1], s[6:7]
	v_fma_f64 v[8:9], v[10:11], s[10:11], -v[8:9]
	v_fma_f64 v[10:11], v[10:11], s[14:15], -v[4:5]
	v_fmac_f64_e32 v[4:5], s[6:7], v[0:1]
	v_mul_f64 v[0:1], v[20:21], s[20:21]
	v_mul_f64 v[20:21], v[14:15], s[18:19]
	v_fma_f64 v[14:15], v[14:15], s[18:19], -v[0:1]
	v_fmac_f64_e32 v[0:1], s[16:17], v[16:17]
	v_fma_f64 v[16:17], v[16:17], s[24:25], -v[20:21]
	v_add_f64 v[8:9], v[8:9], v[22:23]
	v_add_f64 v[10:11], v[10:11], v[22:23]
	v_fmac_f64_e32 v[14:15], s[22:23], v[12:13]
	v_fmac_f64_e32 v[16:17], s[22:23], v[12:13]
	v_add_f64 v[4:5], v[4:5], v[22:23]
	v_fmac_f64_e32 v[0:1], s[22:23], v[12:13]
	v_add_f64 v[12:13], v[8:9], -v[14:15]
	v_add_f64 v[8:9], v[14:15], v[8:9]
	v_add_f64 v[14:15], v[16:17], v[10:11]
	v_mad_i32_i24 v179, v246, 56, v237
	v_add_f64 v[10:11], v[10:11], -v[16:17]
	v_add_f64 v[16:17], v[0:1], v[4:5]
	v_add_f64 v[0:1], v[4:5], -v[0:1]
	ds_write_b64 v178, v[6:7] offset:48
	s_waitcnt vmcnt(7)
	v_add_f64 v[4:5], v[144:145], v[140:141]
	ds_write2_b64 v179, v[14:15], v[12:13] offset0:2 offset1:3
	v_add_f64 v[12:13], v[136:137], v[132:133]
	v_add_f64 v[14:15], v[128:129], v[124:125]
	ds_write2_b64 v179, v[8:9], v[10:11] offset0:4 offset1:5
	v_add_f64 v[8:9], v[12:13], v[4:5]
	ds_write2_b64 v179, v[18:19], v[16:17] offset1:1
	v_add_f64 v[10:11], v[12:13], -v[4:5]
	v_add_f64 v[4:5], v[4:5], -v[14:15]
	v_add_f64 v[12:13], v[14:15], -v[12:13]
	v_add_f64 v[8:9], v[14:15], v[8:9]
	v_add_f64 v[14:15], v[134:135], -v[138:139]
	v_add_f64 v[16:17], v[130:131], -v[126:127]
	v_add_f64 v[6:7], v[142:143], -v[146:147]
	v_add_f64 v[18:19], v[16:17], v[14:15]
	;; [unrolled: 4-line block ×3, first 2 shown]
	v_add_f64 v[18:19], v[116:117], v[8:9]
	v_mov_b64_e32 v[22:23], v[18:19]
	ds_write_b64 v179, v[0:1] offset:48
	v_mul_f64 v[0:1], v[4:5], s[12:13]
	v_fmac_f64_e32 v[22:23], s[2:3], v[8:9]
	v_fma_f64 v[8:9], v[10:11], s[14:15], -v[0:1]
	v_fmac_f64_e32 v[0:1], s[6:7], v[12:13]
	v_mul_f64 v[12:13], v[12:13], s[6:7]
	v_mul_f64 v[4:5], v[20:21], s[20:21]
	v_fma_f64 v[10:11], v[10:11], s[10:11], -v[12:13]
	v_mul_f64 v[12:13], v[14:15], s[18:19]
	v_fma_f64 v[20:21], v[14:15], s[18:19], -v[4:5]
	v_fma_f64 v[12:13], v[16:17], s[24:25], -v[12:13]
	v_fmac_f64_e32 v[4:5], s[16:17], v[16:17]
	v_add_f64 v[10:11], v[10:11], v[22:23]
	v_add_f64 v[8:9], v[8:9], v[22:23]
	v_fmac_f64_e32 v[20:21], s[22:23], v[6:7]
	v_fmac_f64_e32 v[12:13], s[22:23], v[6:7]
	v_add_f64 v[0:1], v[0:1], v[22:23]
	v_fmac_f64_e32 v[4:5], s[22:23], v[6:7]
	v_mad_i32_i24 v239, v114, 56, v237
	v_add_f64 v[6:7], v[10:11], -v[20:21]
	v_add_f64 v[14:15], v[12:13], v[8:9]
	v_add_f64 v[24:25], v[4:5], v[0:1]
	;; [unrolled: 1-line block ×3, first 2 shown]
	v_add_f64 v[8:9], v[8:9], -v[12:13]
	v_add_f64 v[0:1], v[0:1], -v[4:5]
	s_waitcnt vmcnt(0)
	v_add_f64 v[4:5], v[110:111], v[106:107]
	ds_write2_b64 v239, v[14:15], v[6:7] offset0:2 offset1:3
	v_add_f64 v[6:7], v[102:103], v[98:99]
	v_add_f64 v[12:13], v[94:95], v[90:91]
	ds_write2_b64 v239, v[10:11], v[8:9] offset0:4 offset1:5
	v_add_f64 v[8:9], v[6:7], v[4:5]
	v_add_f64 v[14:15], v[100:101], -v[104:105]
	v_add_f64 v[16:17], v[96:97], -v[92:93]
	ds_write2_b64 v239, v[18:19], v[24:25] offset1:1
	v_add_f64 v[10:11], v[6:7], -v[4:5]
	v_add_f64 v[4:5], v[4:5], -v[12:13]
	;; [unrolled: 1-line block ×3, first 2 shown]
	v_add_f64 v[8:9], v[12:13], v[8:9]
	v_add_f64 v[12:13], v[108:109], -v[112:113]
	v_add_f64 v[18:19], v[16:17], v[14:15]
	v_add_f64 v[20:21], v[16:17], -v[14:15]
	v_add_f64 v[16:17], v[12:13], -v[16:17]
	;; [unrolled: 1-line block ×3, first 2 shown]
	v_add_f64 v[12:13], v[18:19], v[12:13]
	v_add_f64 v[18:19], v[86:87], v[8:9]
	v_mov_b64_e32 v[22:23], v[18:19]
	ds_write_b64 v239, v[0:1] offset:48
	v_mul_f64 v[0:1], v[4:5], s[12:13]
	v_fmac_f64_e32 v[22:23], s[2:3], v[8:9]
	v_mul_f64 v[4:5], v[20:21], s[20:21]
	v_fma_f64 v[8:9], v[10:11], s[14:15], -v[0:1]
	v_fmac_f64_e32 v[0:1], s[6:7], v[6:7]
	v_mul_f64 v[6:7], v[6:7], s[6:7]
	v_fma_f64 v[20:21], v[14:15], s[18:19], -v[4:5]
	v_fmac_f64_e32 v[4:5], s[16:17], v[16:17]
	v_fma_f64 v[6:7], v[10:11], s[10:11], -v[6:7]
	v_mul_f64 v[10:11], v[14:15], s[18:19]
	v_add_f64 v[0:1], v[0:1], v[22:23]
	v_fmac_f64_e32 v[4:5], s[22:23], v[12:13]
	v_fma_f64 v[10:11], v[16:17], s[24:25], -v[10:11]
	v_add_f64 v[24:25], v[4:5], v[0:1]
	v_add_f64 v[6:7], v[6:7], v[22:23]
	;; [unrolled: 1-line block ×3, first 2 shown]
	v_fmac_f64_e32 v[20:21], s[22:23], v[12:13]
	v_fmac_f64_e32 v[10:11], s[22:23], v[12:13]
	v_add_f64 v[4:5], v[0:1], -v[4:5]
	v_lshlrev_b32_e32 v0, 3, v252
	v_mad_i32_i24 v240, v115, 56, v237
	v_add_f64 v[12:13], v[6:7], -v[20:21]
	v_add_f64 v[14:15], v[10:11], v[8:9]
	v_add_u32_e32 v1, v237, v0
	v_add3_u32 v253, 0, v0, v26
	v_lshl_add_u32 v0, v236, 3, v237
	v_accvgpr_write_b32 a3, v114
	v_accvgpr_write_b32 a4, v115
	ds_write2_b64 v240, v[18:19], v[24:25] offset1:1
	v_add_f64 v[6:7], v[20:21], v[6:7]
	v_add_f64 v[8:9], v[8:9], -v[10:11]
	ds_write2_b64 v240, v[14:15], v[12:13] offset0:2 offset1:3
	ds_write2_b64 v240, v[6:7], v[8:9] offset0:4 offset1:5
	ds_write_b64 v240, v[4:5] offset:48
	s_waitcnt lgkmcnt(0)
	; wave barrier
	s_waitcnt lgkmcnt(0)
	v_add_u32_e32 v242, 0x400, v253
	v_add_u32_e32 v241, 0x800, v253
	;; [unrolled: 1-line block ×3, first 2 shown]
	ds_read_b64 v[234:235], v1
	ds_read_b64 v[232:233], v0
	ds_read2_b64 v[226:229], v253 offset0:35 offset1:52
	ds_read2_b64 v[222:225], v253 offset0:70 offset1:87
	;; [unrolled: 1-line block ×16, first 2 shown]
	v_accvgpr_write_b32 a8, v26
	v_accvgpr_write_b32 a5, v1
	v_accvgpr_write_b32 a6, v0
	v_cmp_eq_u32_e64 s[0:1], 0, v252
                                        ; implicit-def: $vgpr248_vgpr249
                                        ; implicit-def: $vgpr10_vgpr11
                                        ; implicit-def: $vgpr14_vgpr15
                                        ; implicit-def: $vgpr18_vgpr19
                                        ; implicit-def: $vgpr22_vgpr23
                                        ; implicit-def: $vgpr26_vgpr27
                                        ; implicit-def: $vgpr30_vgpr31
                                        ; implicit-def: $vgpr42_vgpr43
	s_and_saveexec_b64 s[26:27], s[0:1]
	s_cbranch_execz .LBB0_14
; %bb.13:
	v_add_u32_e32 v0, 0x400, v237
	ds_read2_b64 v[4:7], v237 offset0:34 offset1:69
	ds_read2_b64 v[40:43], v237 offset0:104 offset1:139
	;; [unrolled: 1-line block ×4, first 2 shown]
	v_add_u32_e32 v0, 0x800, v237
	ds_read2_b64 v[20:23], v0 offset0:58 offset1:93
	ds_read2_b64 v[16:19], v0 offset0:128 offset1:163
	;; [unrolled: 1-line block ×3, first 2 shown]
	v_add_u32_e32 v0, 0x1000, v237
	ds_read2_b64 v[8:11], v0 offset0:12 offset1:47
	ds_read_b64 v[248:249], v237 offset:4752
.LBB0_14:
	s_or_b64 exec, exec, s[26:27]
	v_add_f64 v[0:1], v[220:221], v[34:35]
	v_add_f64 v[34:35], v[62:63], v[54:55]
	;; [unrolled: 1-line block ×4, first 2 shown]
	v_add_f64 v[52:53], v[52:53], -v[60:61]
	v_add_f64 v[48:49], v[56:57], -v[48:49]
	;; [unrolled: 1-line block ×5, first 2 shown]
	v_add_f64 v[50:51], v[50:51], v[54:55]
	v_add_f64 v[32:33], v[32:33], -v[218:219]
	v_add_f64 v[58:59], v[48:49], v[52:53]
	v_add_f64 v[60:61], v[48:49], -v[52:53]
	;; [unrolled: 2-line block ×3, first 2 shown]
	v_add_f64 v[52:53], v[52:53], -v[32:33]
	v_add_f64 v[32:33], v[58:59], v[32:33]
	v_mul_f64 v[0:1], v[0:1], s[12:13]
	v_mul_f64 v[54:55], v[34:35], s[6:7]
	;; [unrolled: 1-line block ×3, first 2 shown]
	v_mov_b64_e32 v[62:63], v[2:3]
	v_fmac_f64_e32 v[62:63], s[2:3], v[50:51]
	v_fma_f64 v[50:51], v[56:57], s[10:11], -v[54:55]
	v_fma_f64 v[54:55], v[56:57], s[14:15], -v[0:1]
	v_fmac_f64_e32 v[0:1], s[6:7], v[34:35]
	v_fma_f64 v[34:35], v[52:53], s[18:19], -v[58:59]
	v_fmac_f64_e32 v[58:59], s[16:17], v[48:49]
	v_add_f64 v[0:1], v[0:1], v[62:63]
	v_add_f64 v[50:51], v[50:51], v[62:63]
	v_fmac_f64_e32 v[58:59], s[22:23], v[32:33]
	v_fmac_f64_e32 v[34:35], s[22:23], v[32:33]
	v_mul_f64 v[60:61], v[52:53], s[18:19]
	v_add_f64 v[52:53], v[54:55], v[62:63]
	v_add_f64 v[54:55], v[0:1], -v[58:59]
	v_add_f64 v[56:57], v[34:35], v[50:51]
	v_add_f64 v[34:35], v[50:51], -v[34:35]
	v_add_f64 v[50:51], v[58:59], v[0:1]
	v_add_f64 v[0:1], v[208:209], v[204:205]
	;; [unrolled: 1-line block ×3, first 2 shown]
	v_fma_f64 v[48:49], v[48:49], s[24:25], -v[60:61]
	v_add_f64 v[62:63], v[192:193], v[188:189]
	v_add_f64 v[188:189], v[58:59], v[0:1]
	v_fmac_f64_e32 v[48:49], s[22:23], v[32:33]
	v_add_f64 v[60:61], v[194:195], -v[198:199]
	v_add_f64 v[186:187], v[190:191], -v[186:187]
	;; [unrolled: 1-line block ×5, first 2 shown]
	v_add_f64 v[62:63], v[62:63], v[188:189]
	v_add_f64 v[32:33], v[52:53], -v[48:49]
	v_add_f64 v[48:49], v[48:49], v[52:53]
	v_add_f64 v[52:53], v[202:203], -v[206:207]
	;; [unrolled: 2-line block ×4, first 2 shown]
	v_add_f64 v[60:61], v[60:61], -v[52:53]
	v_add_f64 v[52:53], v[192:193], v[52:53]
	v_mul_f64 v[0:1], v[0:1], s[12:13]
	v_mul_f64 v[188:189], v[58:59], s[6:7]
	;; [unrolled: 1-line block ×3, first 2 shown]
	v_mov_b64_e32 v[196:197], v[180:181]
	v_mul_f64 v[194:195], v[60:61], s[18:19]
	v_fmac_f64_e32 v[196:197], s[2:3], v[62:63]
	v_fma_f64 v[62:63], v[190:191], s[10:11], -v[188:189]
	v_fma_f64 v[188:189], v[190:191], s[14:15], -v[0:1]
	v_fmac_f64_e32 v[0:1], s[6:7], v[58:59]
	v_fma_f64 v[58:59], v[60:61], s[18:19], -v[192:193]
	v_fmac_f64_e32 v[192:193], s[16:17], v[186:187]
	v_fma_f64 v[60:61], v[186:187], s[24:25], -v[194:195]
	v_add_f64 v[0:1], v[0:1], v[196:197]
	v_add_f64 v[62:63], v[62:63], v[196:197]
	v_fmac_f64_e32 v[192:193], s[22:23], v[52:53]
	v_fmac_f64_e32 v[58:59], s[22:23], v[52:53]
	v_fmac_f64_e32 v[60:61], s[22:23], v[52:53]
	v_add_f64 v[52:53], v[0:1], -v[192:193]
	v_add_f64 v[190:191], v[58:59], v[62:63]
	v_add_f64 v[58:59], v[62:63], -v[58:59]
	v_add_f64 v[62:63], v[192:193], v[0:1]
	v_add_f64 v[0:1], v[176:177], v[172:173]
	;; [unrolled: 1-line block ×4, first 2 shown]
	v_add_f64 v[154:155], v[158:159], -v[154:155]
	v_add_f64 v[158:159], v[164:165], v[0:1]
	v_add_f64 v[170:171], v[170:171], -v[174:175]
	v_add_f64 v[162:163], v[162:163], -v[166:167]
	;; [unrolled: 1-line block ×5, first 2 shown]
	v_add_f64 v[156:157], v[156:157], v[158:159]
	v_add_f64 v[166:167], v[154:155], v[162:163]
	v_add_f64 v[168:169], v[154:155], -v[162:163]
	v_add_f64 v[162:163], v[162:163], -v[170:171]
	v_add_f64 v[152:153], v[152:153], v[156:157]
	v_add_f64 v[154:155], v[170:171], -v[154:155]
	v_add_f64 v[158:159], v[166:167], v[170:171]
	v_mul_f64 v[0:1], v[0:1], s[12:13]
	v_mul_f64 v[166:167], v[164:165], s[6:7]
	;; [unrolled: 1-line block ×4, first 2 shown]
	v_mov_b64_e32 v[172:173], v[152:153]
	v_fmac_f64_e32 v[172:173], s[2:3], v[156:157]
	v_fma_f64 v[156:157], v[160:161], s[10:11], -v[166:167]
	v_fma_f64 v[160:161], v[160:161], s[14:15], -v[0:1]
	v_fmac_f64_e32 v[0:1], s[6:7], v[164:165]
	v_fma_f64 v[162:163], v[162:163], s[18:19], -v[168:169]
	v_fmac_f64_e32 v[168:169], s[16:17], v[154:155]
	v_fma_f64 v[154:155], v[154:155], s[24:25], -v[170:171]
	v_add_f64 v[0:1], v[0:1], v[172:173]
	v_add_f64 v[160:161], v[160:161], v[172:173]
	v_fmac_f64_e32 v[168:169], s[22:23], v[158:159]
	v_fmac_f64_e32 v[154:155], s[22:23], v[158:159]
	;; [unrolled: 1-line block ×3, first 2 shown]
	v_add_f64 v[158:159], v[0:1], -v[168:169]
	v_add_f64 v[164:165], v[160:161], -v[154:155]
	v_add_f64 v[154:155], v[154:155], v[160:161]
	v_add_f64 v[160:161], v[168:169], v[0:1]
	;; [unrolled: 1-line block ×5, first 2 shown]
	v_add_f64 v[124:125], v[128:129], -v[124:125]
	v_add_f64 v[128:129], v[134:135], v[0:1]
	v_add_f64 v[140:141], v[140:141], -v[144:145]
	v_add_f64 v[132:133], v[132:133], -v[136:137]
	v_add_f64 v[130:131], v[134:135], -v[0:1]
	v_add_f64 v[0:1], v[0:1], -v[126:127]
	v_add_f64 v[134:135], v[126:127], -v[134:135]
	v_add_f64 v[126:127], v[126:127], v[128:129]
	v_add_f64 v[136:137], v[124:125], v[132:133]
	v_add_f64 v[138:139], v[124:125], -v[132:133]
	v_add_f64 v[132:133], v[132:133], -v[140:141]
	v_add_f64 v[118:119], v[118:119], v[126:127]
	v_add_f64 v[124:125], v[140:141], -v[124:125]
	v_add_f64 v[128:129], v[136:137], v[140:141]
	v_mul_f64 v[0:1], v[0:1], s[12:13]
	v_mul_f64 v[136:137], v[134:135], s[6:7]
	;; [unrolled: 1-line block ×4, first 2 shown]
	v_mov_b64_e32 v[142:143], v[118:119]
	v_fmac_f64_e32 v[142:143], s[2:3], v[126:127]
	v_fma_f64 v[126:127], v[130:131], s[10:11], -v[136:137]
	v_fma_f64 v[130:131], v[130:131], s[14:15], -v[0:1]
	v_fmac_f64_e32 v[0:1], s[6:7], v[134:135]
	v_fma_f64 v[132:133], v[132:133], s[18:19], -v[138:139]
	v_fmac_f64_e32 v[138:139], s[16:17], v[124:125]
	v_fma_f64 v[124:125], v[124:125], s[24:25], -v[140:141]
	v_add_f64 v[0:1], v[0:1], v[142:143]
	v_add_f64 v[130:131], v[130:131], v[142:143]
	v_fmac_f64_e32 v[138:139], s[22:23], v[128:129]
	v_fmac_f64_e32 v[124:125], s[22:23], v[128:129]
	;; [unrolled: 1-line block ×3, first 2 shown]
	v_add_f64 v[128:129], v[0:1], -v[138:139]
	v_add_f64 v[134:135], v[130:131], -v[124:125]
	v_add_f64 v[124:125], v[124:125], v[130:131]
	v_add_f64 v[130:131], v[138:139], v[0:1]
	;; [unrolled: 1-line block ×5, first 2 shown]
	v_add_f64 v[90:91], v[94:95], -v[90:91]
	v_add_f64 v[94:95], v[100:101], v[0:1]
	v_add_f64 v[106:107], v[106:107], -v[110:111]
	v_add_f64 v[98:99], v[98:99], -v[102:103]
	;; [unrolled: 1-line block ×5, first 2 shown]
	v_add_f64 v[92:93], v[92:93], v[94:95]
	v_add_f64 v[102:103], v[90:91], v[98:99]
	v_add_f64 v[104:105], v[90:91], -v[98:99]
	v_add_f64 v[98:99], v[98:99], -v[106:107]
	v_add_f64 v[88:89], v[88:89], v[92:93]
	v_add_f64 v[90:91], v[106:107], -v[90:91]
	v_add_f64 v[94:95], v[102:103], v[106:107]
	v_mul_f64 v[0:1], v[0:1], s[12:13]
	v_mul_f64 v[102:103], v[100:101], s[6:7]
	;; [unrolled: 1-line block ×4, first 2 shown]
	v_mov_b64_e32 v[108:109], v[88:89]
	v_fmac_f64_e32 v[108:109], s[2:3], v[92:93]
	v_fma_f64 v[92:93], v[96:97], s[10:11], -v[102:103]
	v_fma_f64 v[96:97], v[96:97], s[14:15], -v[0:1]
	v_fmac_f64_e32 v[0:1], s[6:7], v[100:101]
	v_fma_f64 v[98:99], v[98:99], s[18:19], -v[104:105]
	v_fmac_f64_e32 v[104:105], s[16:17], v[90:91]
	v_fma_f64 v[90:91], v[90:91], s[24:25], -v[106:107]
	v_add_f64 v[156:157], v[156:157], v[172:173]
	v_add_f64 v[126:127], v[126:127], v[142:143]
	;; [unrolled: 1-line block ×5, first 2 shown]
	v_fmac_f64_e32 v[104:105], s[22:23], v[94:95]
	v_fmac_f64_e32 v[98:99], s[22:23], v[94:95]
	;; [unrolled: 1-line block ×3, first 2 shown]
	v_add_f64 v[186:187], v[188:189], v[196:197]
	v_add_f64 v[166:167], v[162:163], v[156:157]
	v_add_f64 v[156:157], v[156:157], -v[162:163]
	v_add_f64 v[136:137], v[132:133], v[126:127]
	v_add_f64 v[126:127], v[126:127], -v[132:133]
	v_add_f64 v[94:95], v[0:1], -v[104:105]
	;; [unrolled: 1-line block ×3, first 2 shown]
	v_add_f64 v[102:103], v[98:99], v[92:93]
	v_add_f64 v[92:93], v[92:93], -v[98:99]
	v_add_f64 v[188:189], v[186:187], -v[60:61]
	v_add_f64 v[60:61], v[60:61], v[186:187]
	v_add_f64 v[90:91], v[90:91], v[96:97]
	;; [unrolled: 1-line block ×3, first 2 shown]
	s_waitcnt lgkmcnt(0)
	; wave barrier
	s_waitcnt lgkmcnt(0)
	ds_write2_b64 v238, v[2:3], v[54:55] offset1:1
	ds_write2_b64 v238, v[32:33], v[56:57] offset0:2 offset1:3
	ds_write2_b64 v238, v[34:35], v[48:49] offset0:4 offset1:5
	ds_write_b64 v238, v[50:51] offset:48
	ds_write2_b64 v178, v[180:181], v[52:53] offset1:1
	ds_write2_b64 v178, v[188:189], v[190:191] offset0:2 offset1:3
	ds_write2_b64 v178, v[58:59], v[60:61] offset0:4 offset1:5
	ds_write_b64 v178, v[62:63] offset:48
	;; [unrolled: 4-line block ×5, first 2 shown]
	s_waitcnt lgkmcnt(0)
	; wave barrier
	s_waitcnt lgkmcnt(0)
	ds_read2_b64 v[172:175], v253 offset0:35 offset1:52
	ds_read2_b64 v[168:171], v253 offset0:70 offset1:87
	;; [unrolled: 1-line block ×16, first 2 shown]
	v_accvgpr_read_b32 v2, a5
	ds_read_b64 v[118:119], v2
	v_accvgpr_read_b32 v2, a6
	ds_read_b64 v[112:113], v2
                                        ; implicit-def: $vgpr250_vgpr251
                                        ; implicit-def: $vgpr34_vgpr35
                                        ; implicit-def: $vgpr50_vgpr51
                                        ; implicit-def: $vgpr54_vgpr55
                                        ; implicit-def: $vgpr58_vgpr59
                                        ; implicit-def: $vgpr62_vgpr63
                                        ; implicit-def: $vgpr90_vgpr91
                                        ; implicit-def: $vgpr98_vgpr99
	s_and_saveexec_b64 s[2:3], s[0:1]
	s_cbranch_execz .LBB0_16
; %bb.15:
	v_add_u32_e32 v32, 0x400, v237
	ds_read2_b64 v[0:3], v237 offset0:34 offset1:69
	ds_read2_b64 v[96:99], v237 offset0:104 offset1:139
	;; [unrolled: 1-line block ×4, first 2 shown]
	v_add_u32_e32 v32, 0x800, v237
	ds_read2_b64 v[56:59], v32 offset0:58 offset1:93
	ds_read2_b64 v[52:55], v32 offset0:128 offset1:163
	;; [unrolled: 1-line block ×3, first 2 shown]
	v_add_u32_e32 v32, 0x1000, v237
	ds_read2_b64 v[32:35], v32 offset0:12 offset1:47
	ds_read_b64 v[250:251], v237 offset:4752
.LBB0_16:
	s_or_b64 exec, exec, s[2:3]
	v_mov_b32_e32 v206, 37
	v_mul_lo_u16_sdwa v176, v252, v206 dst_sel:DWORD dst_unused:UNUSED_PAD src0_sel:BYTE_0 src1_sel:DWORD
	v_sub_u16_sdwa v177, v252, v176 dst_sel:DWORD dst_unused:UNUSED_PAD src0_sel:DWORD src1_sel:BYTE_1
	v_lshrrev_b16_e32 v177, 1, v177
	v_and_b32_e32 v177, 0x7f, v177
	v_add_u16_sdwa v176, v177, v176 dst_sel:DWORD dst_unused:UNUSED_PAD src0_sel:DWORD src1_sel:BYTE_1
	v_lshrrev_b16_e32 v237, 2, v176
	v_mul_lo_u16_e32 v176, 7, v237
	v_mul_lo_u16_sdwa v180, v236, v206 dst_sel:DWORD dst_unused:UNUSED_PAD src0_sel:BYTE_0 src1_sel:DWORD
	v_sub_u16_e32 v176, v252, v176
	v_mov_b32_e32 v207, 8
	v_sub_u16_sdwa v181, v236, v180 dst_sel:DWORD dst_unused:UNUSED_PAD src0_sel:DWORD src1_sel:BYTE_1
	v_lshlrev_b32_sdwa v208, v207, v176 dst_sel:DWORD dst_unused:UNUSED_PAD src0_sel:DWORD src1_sel:BYTE_0
	v_lshrrev_b16_e32 v181, 1, v181
	v_accvgpr_write_b32 a9, v176
	global_load_dwordx4 v[176:179], v208, s[4:5]
	v_and_b32_e32 v181, 0x7f, v181
	v_add_u16_sdwa v180, v181, v180 dst_sel:DWORD dst_unused:UNUSED_PAD src0_sel:DWORD src1_sel:BYTE_1
	v_lshrrev_b16_e32 v181, 2, v180
	v_mul_lo_u16_e32 v180, 7, v181
	v_sub_u16_e32 v180, v236, v180
	v_lshlrev_b32_sdwa v209, v207, v180 dst_sel:DWORD dst_unused:UNUSED_PAD src0_sel:DWORD src1_sel:BYTE_0
	global_load_dwordx4 v[190:193], v209, s[4:5]
	global_load_dwordx4 v[194:197], v208, s[4:5] offset:16
	global_load_dwordx4 v[202:205], v209, s[4:5] offset:16
	;; [unrolled: 1-line block ×5, first 2 shown]
	v_accvgpr_write_b32 a30, v181
	v_accvgpr_write_b32 a31, v180
	;; [unrolled: 1-line block ×3, first 2 shown]
	s_mov_b32 s14, 0x5d8e7cdc
	s_mov_b32 s15, 0xbfd71e95
	;; [unrolled: 1-line block ×48, first 2 shown]
	s_movk_i32 s33, 0x3b8
	s_waitcnt vmcnt(6)
	v_mul_f64 v[188:189], v[226:227], v[178:179]
	s_waitcnt lgkmcnt(14)
	v_mul_f64 v[180:181], v[172:173], v[178:179]
	v_fmac_f64_e32 v[188:189], v[172:173], v[176:177]
	s_waitcnt vmcnt(5)
	v_mul_f64 v[172:173], v[174:175], v[192:193]
	v_fma_f64 v[198:199], v[226:227], v[176:177], -v[180:181]
	v_mul_f64 v[176:177], v[228:229], v[192:193]
	v_fma_f64 v[172:173], v[228:229], v[190:191], -v[172:173]
	global_load_dwordx4 v[226:229], v209, s[4:5] offset:48
	v_accvgpr_write_b32 a36, v172
	v_accvgpr_write_b32 a37, v173
	v_fmac_f64_e32 v[176:177], v[174:175], v[190:191]
	global_load_dwordx4 v[172:175], v208, s[4:5] offset:64
	s_waitcnt vmcnt(6)
	v_mul_f64 v[200:201], v[222:223], v[196:197]
	v_mul_f64 v[178:179], v[168:169], v[196:197]
	v_fmac_f64_e32 v[200:201], v[168:169], v[194:195]
	s_waitcnt vmcnt(5)
	v_mul_f64 v[168:169], v[170:171], v[204:205]
	v_fma_f64 v[190:191], v[222:223], v[194:195], -v[178:179]
	v_mul_f64 v[178:179], v[224:225], v[204:205]
	v_fma_f64 v[168:169], v[224:225], v[202:203], -v[168:169]
	global_load_dwordx4 v[222:225], v209, s[4:5] offset:64
	v_fmac_f64_e32 v[178:179], v[170:171], v[202:203]
	global_load_dwordx4 v[202:205], v208, s[4:5] offset:80
	v_accvgpr_write_b32 a16, v168
	s_waitcnt vmcnt(6)
	v_mul_f64 v[196:197], v[214:215], v[220:221]
	v_accvgpr_write_b32 a17, v169
	v_mul_f64 v[168:169], v[164:165], v[220:221]
	v_fmac_f64_e32 v[196:197], v[164:165], v[218:219]
	s_waitcnt vmcnt(5)
	v_mul_f64 v[164:165], v[166:167], v[240:241]
	v_fma_f64 v[186:187], v[214:215], v[218:219], -v[168:169]
	v_mul_f64 v[170:171], v[216:217], v[240:241]
	v_fma_f64 v[164:165], v[216:217], v[238:239], -v[164:165]
	global_load_dwordx4 v[214:217], v209, s[4:5] offset:80
	global_load_dwordx4 v[218:221], v208, s[4:5] offset:96
	v_accvgpr_write_b32 a12, v164
	s_waitcnt vmcnt(6)
	v_mul_f64 v[192:193], v[210:211], v[244:245]
	v_accvgpr_write_b32 a13, v165
	v_fmac_f64_e32 v[170:171], v[166:167], v[238:239]
	v_mul_f64 v[164:165], v[160:161], v[244:245]
	v_fmac_f64_e32 v[192:193], v[160:161], v[242:243]
	global_load_dwordx4 v[238:241], v209, s[4:5] offset:96
	v_fma_f64 v[254:255], v[210:211], v[242:243], -v[164:165]
	global_load_dwordx4 v[242:245], v209, s[4:5] offset:176
	v_accvgpr_write_b32 a54, v254
	v_accvgpr_write_b32 a55, v255
	;; [unrolled: 1-line block ×8, first 2 shown]
	s_waitcnt vmcnt(7)
	v_mul_f64 v[160:161], v[162:163], v[228:229]
	v_mul_f64 v[166:167], v[212:213], v[228:229]
	v_fma_f64 v[160:161], v[212:213], v[226:227], -v[160:161]
	v_accvgpr_write_b32 a10, v160
	v_fmac_f64_e32 v[166:167], v[162:163], v[226:227]
	global_load_dwordx4 v[226:229], v208, s[4:5] offset:112
	v_accvgpr_write_b32 a11, v161
	s_waitcnt vmcnt(7) lgkmcnt(13)
	v_mul_f64 v[160:161], v[156:157], v[174:175]
	v_mul_f64 v[180:181], v[182:183], v[174:175]
	v_fma_f64 v[168:169], v[182:183], v[172:173], -v[160:161]
	v_fmac_f64_e32 v[180:181], v[156:157], v[172:173]
	global_load_dwordx4 v[172:175], v209, s[4:5] offset:112
	s_waitcnt vmcnt(7)
	v_mul_f64 v[156:157], v[158:159], v[224:225]
	v_mul_f64 v[160:161], v[184:185], v[224:225]
	v_fma_f64 v[194:195], v[184:185], v[222:223], -v[156:157]
	v_fmac_f64_e32 v[160:161], v[158:159], v[222:223]
	global_load_dwordx4 v[222:225], v208, s[4:5] offset:128
	s_waitcnt vmcnt(7) lgkmcnt(12)
	v_mul_f64 v[156:157], v[152:153], v[204:205]
	v_mul_f64 v[182:183], v[148:149], v[204:205]
	v_fma_f64 v[156:157], v[148:149], v[202:203], -v[156:157]
	v_fmac_f64_e32 v[182:183], v[152:153], v[202:203]
	global_load_dwordx4 v[202:205], v209, s[4:5] offset:128
	global_load_dwordx4 v[162:165], v209, s[4:5] offset:240
	v_accvgpr_write_b32 a46, v168
	s_waitcnt vmcnt(8)
	v_mul_f64 v[148:149], v[154:155], v[216:217]
	v_mul_f64 v[152:153], v[150:151], v[216:217]
	v_fma_f64 v[148:149], v[150:151], v[214:215], -v[148:149]
	v_fmac_f64_e32 v[152:153], v[154:155], v[214:215]
	global_load_dwordx4 v[212:215], v208, s[4:5] offset:144
	s_waitcnt vmcnt(8) lgkmcnt(11)
	v_mul_f64 v[150:151], v[144:145], v[220:221]
	v_mul_f64 v[154:155], v[120:121], v[220:221]
	v_fma_f64 v[158:159], v[120:121], v[218:219], -v[150:151]
	v_fmac_f64_e32 v[154:155], v[144:145], v[218:219]
	global_load_dwordx4 v[216:219], v209, s[4:5] offset:144
	v_accvgpr_write_b32 a14, v148
	s_waitcnt vmcnt(8)
	v_mul_f64 v[120:121], v[146:147], v[240:241]
	v_accvgpr_write_b32 a15, v149
	v_fma_f64 v[148:149], v[122:123], v[238:239], -v[120:121]
	v_mul_f64 v[122:123], v[122:123], v[240:241]
	v_fmac_f64_e32 v[122:123], v[146:147], v[238:239]
	global_load_dwordx4 v[238:241], v208, s[4:5] offset:160
	v_accvgpr_write_b32 a47, v169
	s_waitcnt vmcnt(7) lgkmcnt(10)
	v_mul_f64 v[144:145], v[140:141], v[228:229]
	v_mul_f64 v[146:147], v[114:115], v[228:229]
	v_fma_f64 v[150:151], v[114:115], v[226:227], -v[144:145]
	v_fmac_f64_e32 v[146:147], v[140:141], v[226:227]
	global_load_dwordx4 v[226:229], v209, s[4:5] offset:160
	s_waitcnt vmcnt(7)
	v_mul_f64 v[114:115], v[142:143], v[174:175]
	v_fma_f64 v[120:121], v[116:117], v[172:173], -v[114:115]
	v_mul_f64 v[116:117], v[116:117], v[174:175]
	v_fmac_f64_e32 v[116:117], v[142:143], v[172:173]
	global_load_dwordx4 v[172:175], v208, s[4:5] offset:176
	s_waitcnt vmcnt(7) lgkmcnt(9)
	v_mul_f64 v[114:115], v[136:137], v[224:225]
	v_fma_f64 v[140:141], v[84:85], v[222:223], -v[114:115]
	v_mul_f64 v[142:143], v[84:85], v[224:225]
	v_fmac_f64_e32 v[142:143], v[136:137], v[222:223]
	s_waitcnt vmcnt(6)
	v_mul_f64 v[84:85], v[138:139], v[204:205]
	v_fma_f64 v[84:85], v[86:87], v[202:203], -v[84:85]
	v_mul_f64 v[86:87], v[86:87], v[204:205]
	v_fmac_f64_e32 v[86:87], v[138:139], v[202:203]
	global_load_dwordx4 v[136:139], v208, s[4:5] offset:192
	s_waitcnt vmcnt(5) lgkmcnt(8)
	v_mul_f64 v[114:115], v[132:133], v[214:215]
	v_fma_f64 v[202:203], v[80:81], v[212:213], -v[114:115]
	v_mul_f64 v[204:205], v[80:81], v[214:215]
	v_fmac_f64_e32 v[204:205], v[132:133], v[212:213]
	global_load_dwordx4 v[210:213], v208, s[4:5] offset:208
	s_waitcnt vmcnt(5)
	v_mul_f64 v[80:81], v[134:135], v[218:219]
	v_fma_f64 v[114:115], v[82:83], v[216:217], -v[80:81]
	v_mul_f64 v[82:83], v[82:83], v[218:219]
	global_load_dwordx4 v[218:221], v209, s[4:5] offset:192
	v_fmac_f64_e32 v[82:83], v[134:135], v[216:217]
	s_waitcnt vmcnt(5) lgkmcnt(7)
	v_mul_f64 v[80:81], v[128:129], v[240:241]
	v_fma_f64 v[214:215], v[76:77], v[238:239], -v[80:81]
	v_mul_f64 v[216:217], v[76:77], v[240:241]
	v_fmac_f64_e32 v[216:217], v[128:129], v[238:239]
	s_waitcnt vmcnt(4)
	v_mul_f64 v[76:77], v[130:131], v[228:229]
	v_fma_f64 v[144:145], v[78:79], v[226:227], -v[76:77]
	v_mul_f64 v[132:133], v[78:79], v[228:229]
	global_load_dwordx4 v[78:81], v209, s[4:5] offset:208
	v_fmac_f64_e32 v[132:133], v[130:131], v[226:227]
	global_load_dwordx4 v[128:131], v208, s[4:5] offset:224
	s_waitcnt vmcnt(5) lgkmcnt(6)
	v_mul_f64 v[76:77], v[124:125], v[174:175]
	v_fma_f64 v[222:223], v[72:73], v[172:173], -v[76:77]
	v_mul_f64 v[224:225], v[72:73], v[174:175]
	v_mul_f64 v[72:73], v[126:127], v[244:245]
	v_fmac_f64_e32 v[224:225], v[124:125], v[172:173]
	v_fma_f64 v[72:73], v[74:75], v[242:243], -v[72:73]
	v_mul_f64 v[74:75], v[74:75], v[244:245]
	global_load_dwordx4 v[172:175], v209, s[4:5] offset:224
	v_fmac_f64_e32 v[74:75], v[126:127], v[242:243]
	global_load_dwordx4 v[124:127], v208, s[4:5] offset:240
	s_waitcnt vmcnt(6) lgkmcnt(5)
	v_mul_f64 v[76:77], v[108:109], v[138:139]
	v_fma_f64 v[226:227], v[68:69], v[136:137], -v[76:77]
	v_mul_f64 v[228:229], v[68:69], v[138:139]
	v_mul_lo_u16_sdwa v68, v246, v206 dst_sel:DWORD dst_unused:UNUSED_PAD src0_sel:BYTE_0 src1_sel:DWORD
	v_sub_u16_sdwa v69, v246, v68 dst_sel:DWORD dst_unused:UNUSED_PAD src0_sel:DWORD src1_sel:BYTE_1
	v_lshrrev_b16_e32 v69, 1, v69
	v_and_b32_e32 v69, 0x7f, v69
	v_add_u16_sdwa v68, v69, v68 dst_sel:DWORD dst_unused:UNUSED_PAD src0_sel:DWORD src1_sel:BYTE_1
	v_lshrrev_b16_e32 v68, 2, v68
	v_mul_lo_u16_e32 v68, 7, v68
	v_fmac_f64_e32 v[228:229], v[108:109], v[136:137]
	v_sub_u16_e32 v108, v246, v68
	v_lshlrev_b32_sdwa v109, v207, v108 dst_sel:DWORD dst_unused:UNUSED_PAD src0_sel:DWORD src1_sel:BYTE_0
	s_waitcnt vmcnt(4)
	v_mul_f64 v[68:69], v[110:111], v[220:221]
	v_fma_f64 v[136:137], v[70:71], v[218:219], -v[68:69]
	v_mul_f64 v[138:139], v[70:71], v[220:221]
	global_load_dwordx4 v[68:71], v109, s[4:5] offset:16
	s_waitcnt lgkmcnt(4)
	v_mul_f64 v[76:77], v[104:105], v[212:213]
	v_mul_f64 v[238:239], v[64:65], v[212:213]
	v_fma_f64 v[76:77], v[64:65], v[210:211], -v[76:77]
	v_fmac_f64_e32 v[238:239], v[104:105], v[210:211]
	global_load_dwordx4 v[210:213], v109, s[4:5] offset:32
	v_fmac_f64_e32 v[138:139], v[110:111], v[218:219]
	s_waitcnt vmcnt(5)
	v_mul_f64 v[64:65], v[106:107], v[80:81]
	v_mul_f64 v[208:209], v[66:67], v[80:81]
	v_fma_f64 v[206:207], v[66:67], v[78:79], -v[64:65]
	v_fmac_f64_e32 v[208:209], v[106:107], v[78:79]
	global_load_dwordx4 v[78:81], v109, s[4:5] offset:48
	global_load_dwordx4 v[104:107], v109, s[4:5] offset:64
	s_waitcnt vmcnt(6) lgkmcnt(3)
	v_mul_f64 v[64:65], v[100:101], v[130:131]
	v_fma_f64 v[240:241], v[44:45], v[128:129], -v[64:65]
	v_mul_f64 v[242:243], v[44:45], v[130:131]
	v_fmac_f64_e32 v[242:243], v[100:101], v[128:129]
	global_load_dwordx4 v[128:131], v109, s[4:5] offset:80
	s_waitcnt vmcnt(6)
	v_mul_f64 v[44:45], v[102:103], v[174:175]
	v_fma_f64 v[220:221], v[46:47], v[172:173], -v[44:45]
	s_waitcnt vmcnt(5) lgkmcnt(2)
	v_mul_f64 v[44:45], v[92:93], v[126:127]
	v_fma_f64 v[244:245], v[36:37], v[124:125], -v[44:45]
	v_mul_f64 v[246:247], v[36:37], v[126:127]
	v_mul_f64 v[36:37], v[94:95], v[164:165]
	v_fmac_f64_e32 v[246:247], v[92:93], v[124:125]
	v_fma_f64 v[92:93], v[38:39], v[162:163], -v[36:37]
	v_mul_f64 v[38:39], v[38:39], v[164:165]
	global_load_dwordx4 v[124:127], v109, s[4:5] offset:96
	v_fmac_f64_e32 v[38:39], v[94:95], v[162:163]
	global_load_dwordx4 v[162:165], v109, s[4:5] offset:112
	v_mul_f64 v[46:47], v[46:47], v[174:175]
	v_fmac_f64_e32 v[46:47], v[102:103], v[172:173]
	global_load_dwordx4 v[172:175], v109, s[4:5] offset:128
	global_load_dwordx4 v[64:67], v109, s[4:5] offset:144
	s_waitcnt vmcnt(8)
	v_mul_f64 v[36:37], v[96:97], v[70:71]
	v_fma_f64 v[36:37], v[40:41], v[68:69], -v[36:37]
	v_accvgpr_write_b32 a34, v36
	v_accvgpr_write_b32 a35, v37
	v_mul_f64 v[102:103], v[40:41], v[70:71]
	s_waitcnt vmcnt(7)
	v_mul_f64 v[36:37], v[98:99], v[212:213]
	v_fma_f64 v[36:37], v[42:43], v[210:211], -v[36:37]
	v_accvgpr_write_b32 a26, v36
	v_mul_f64 v[70:71], v[42:43], v[212:213]
	v_accvgpr_write_b32 a27, v37
	v_fmac_f64_e32 v[70:71], v[98:99], v[210:211]
	global_load_dwordx4 v[210:213], v109, s[4:5]
	v_fmac_f64_e32 v[102:103], v[96:97], v[68:69]
	v_accvgpr_read_b32 v43, a11
	v_accvgpr_read_b32 v42, a10
	v_accvgpr_mov_b32 a10, a36
	v_accvgpr_mov_b32 a11, a37
	s_waitcnt vmcnt(7)
	v_mul_f64 v[36:37], v[88:89], v[80:81]
	v_fma_f64 v[36:37], v[28:29], v[78:79], -v[36:37]
	v_mul_f64 v[96:97], v[28:29], v[80:81]
	s_waitcnt vmcnt(6)
	v_mul_f64 v[28:29], v[90:91], v[106:107]
	v_fma_f64 v[28:29], v[30:31], v[104:105], -v[28:29]
	v_accvgpr_write_b32 a28, v28
	v_accvgpr_write_b32 a29, v29
	s_waitcnt vmcnt(5)
	v_mul_f64 v[28:29], v[60:61], v[130:131]
	v_fma_f64 v[28:29], v[24:25], v[128:129], -v[28:29]
	v_accvgpr_write_b32 a32, v36
	v_accvgpr_write_b32 a20, v28
	;; [unrolled: 1-line block ×3, first 2 shown]
	v_fmac_f64_e32 v[96:97], v[88:89], v[78:79]
	v_mul_f64 v[78:79], v[30:31], v[106:107]
	v_accvgpr_write_b32 a21, v29
	v_mul_f64 v[36:37], v[24:25], v[130:131]
	s_waitcnt vmcnt(4)
	v_mul_f64 v[24:25], v[62:63], v[126:127]
	v_fmac_f64_e32 v[78:79], v[90:91], v[104:105]
	s_waitcnt vmcnt(3)
	v_mul_f64 v[28:29], v[56:57], v[164:165]
	global_load_dwordx4 v[88:91], v109, s[4:5] offset:160
	v_fma_f64 v[24:25], v[26:27], v[124:125], -v[24:25]
	v_fma_f64 v[28:29], v[20:21], v[162:163], -v[28:29]
	v_fmac_f64_e32 v[36:37], v[60:61], v[128:129]
	global_load_dwordx4 v[128:131], v109, s[4:5] offset:176
	v_accvgpr_write_b32 a24, v24
	v_accvgpr_write_b32 a18, v28
	;; [unrolled: 1-line block ×3, first 2 shown]
	v_mul_f64 v[68:69], v[26:27], v[126:127]
	global_load_dwordx4 v[24:27], v109, s[4:5] offset:192
	v_accvgpr_write_b32 a19, v29
	v_mul_f64 v[28:29], v[20:21], v[164:165]
	v_fmac_f64_e32 v[28:29], v[56:57], v[162:163]
	global_load_dwordx4 v[162:165], v109, s[4:5] offset:208
	s_waitcnt vmcnt(6)
	v_mul_f64 v[20:21], v[58:59], v[174:175]
	v_fma_f64 v[20:21], v[22:23], v[172:173], -v[20:21]
	v_accvgpr_write_b32 a23, v21
	v_mul_f64 v[44:45], v[22:23], v[174:175]
	v_accvgpr_write_b32 a22, v20
	v_fmac_f64_e32 v[44:45], v[58:59], v[172:173]
	global_load_dwordx4 v[20:23], v109, s[4:5] offset:224
	global_load_dwordx4 v[56:59], v109, s[4:5] offset:240
	s_waitcnt vmcnt(6)
	v_mul_f64 v[30:31], v[2:3], v[212:213]
	v_mul_f64 v[212:213], v[6:7], v[212:213]
	v_fmac_f64_e32 v[212:213], v[2:3], v[210:211]
	v_mul_f64 v[2:3], v[52:53], v[66:67]
	v_fma_f64 v[172:173], v[16:17], v[64:65], -v[2:3]
	v_fma_f64 v[30:31], v[6:7], v[210:211], -v[30:31]
	v_fmac_f64_e32 v[68:69], v[62:63], v[124:125]
	v_add_f64 v[6:7], v[188:189], -v[246:247]
	v_mul_f64 v[98:99], v[16:17], v[66:67]
	v_mul_f64 v[16:17], v[6:7], s[38:39]
	;; [unrolled: 1-line block ×3, first 2 shown]
	v_fmac_f64_e32 v[98:99], v[52:53], v[64:65]
	v_accvgpr_write_b32 a67, v31
	v_accvgpr_write_b32 a66, v30
	v_accvgpr_read_b32 v30, a36
	v_accvgpr_read_b32 v31, a37
	s_waitcnt lgkmcnt(0)
	; wave barrier
	s_waitcnt vmcnt(5) lgkmcnt(0)
	v_mul_f64 v[2:3], v[54:55], v[90:91]
	v_fma_f64 v[174:175], v[18:19], v[88:89], -v[2:3]
	v_mul_f64 v[106:107], v[18:19], v[90:91]
	v_fmac_f64_e32 v[106:107], v[54:55], v[88:89]
	s_waitcnt vmcnt(4)
	v_mul_f64 v[2:3], v[48:49], v[130:131]
	v_fma_f64 v[210:211], v[12:13], v[128:129], -v[2:3]
	v_mul_f64 v[110:111], v[12:13], v[130:131]
	v_mul_f64 v[12:13], v[6:7], s[24:25]
	v_fmac_f64_e32 v[110:111], v[48:49], v[128:129]
	s_waitcnt vmcnt(3)
	v_mul_f64 v[2:3], v[50:51], v[26:27]
	v_fma_f64 v[130:131], v[14:15], v[24:25], -v[2:3]
	v_mul_f64 v[126:127], v[14:15], v[26:27]
	v_fmac_f64_e32 v[126:127], v[50:51], v[24:25]
	s_waitcnt vmcnt(2)
	v_mul_f64 v[2:3], v[32:33], v[164:165]
	v_fma_f64 v[2:3], v[8:9], v[162:163], -v[2:3]
	v_accvgpr_write_b32 a61, v3
	v_accvgpr_write_b32 a60, v2
	v_mul_f64 v[134:135], v[8:9], v[164:165]
	v_mul_f64 v[8:9], v[6:7], s[14:15]
	s_waitcnt vmcnt(1)
	v_mul_f64 v[2:3], v[34:35], v[22:23]
	v_fma_f64 v[124:125], v[10:11], v[20:21], -v[2:3]
	s_waitcnt vmcnt(0)
	v_mul_f64 v[2:3], v[250:251], v[58:59]
	v_mul_f64 v[184:185], v[10:11], v[22:23]
	v_fma_f64 v[164:165], v[248:249], v[56:57], -v[2:3]
	v_mul_f64 v[218:219], v[248:249], v[58:59]
	v_add_f64 v[2:3], v[198:199], v[244:245]
	v_fmac_f64_e32 v[184:185], v[34:35], v[20:21]
	v_fmac_f64_e32 v[218:219], v[250:251], v[56:57]
	v_fma_f64 v[10:11], v[2:3], s[2:3], -v[8:9]
	v_mul_f64 v[20:21], v[6:7], s[26:27]
	v_mul_f64 v[24:25], v[6:7], s[16:17]
	;; [unrolled: 1-line block ×4, first 2 shown]
	v_add_f64 v[56:57], v[200:201], -v[242:243]
	v_fmac_f64_e32 v[8:9], s[2:3], v[2:3]
	v_fma_f64 v[14:15], v[2:3], s[6:7], -v[12:13]
	v_fmac_f64_e32 v[12:13], s[6:7], v[2:3]
	v_fma_f64 v[18:19], v[2:3], s[10:11], -v[16:17]
	;; [unrolled: 2-line block ×7, first 2 shown]
	v_fmac_f64_e32 v[6:7], s[36:37], v[2:3]
	v_add_f64 v[2:3], v[234:235], v[10:11]
	v_add_f64 v[10:11], v[190:191], v[240:241]
	v_mul_f64 v[58:59], v[56:57], s[24:25]
	v_fma_f64 v[60:61], v[10:11], s[6:7], -v[58:59]
	v_add_f64 v[8:9], v[234:235], v[8:9]
	v_fmac_f64_e32 v[58:59], s[6:7], v[10:11]
	v_add_f64 v[8:9], v[58:59], v[8:9]
	v_mul_f64 v[58:59], v[56:57], s[26:27]
	v_add_f64 v[2:3], v[60:61], v[2:3]
	v_fma_f64 v[60:61], v[10:11], s[12:13], -v[58:59]
	v_add_f64 v[12:13], v[234:235], v[12:13]
	v_fmac_f64_e32 v[58:59], s[12:13], v[10:11]
	v_add_f64 v[14:15], v[234:235], v[14:15]
	v_add_f64 v[12:13], v[58:59], v[12:13]
	v_mul_f64 v[58:59], v[56:57], s[20:21]
	v_add_f64 v[14:15], v[60:61], v[14:15]
	v_fma_f64 v[60:61], v[10:11], s[22:23], -v[58:59]
	v_add_f64 v[16:17], v[234:235], v[16:17]
	v_fmac_f64_e32 v[58:59], s[22:23], v[10:11]
	v_add_f64 v[18:19], v[234:235], v[18:19]
	;; [unrolled: 7-line block ×5, first 2 shown]
	v_add_f64 v[40:41], v[58:59], v[40:41]
	v_mul_f64 v[58:59], v[56:57], s[40:41]
	v_add_f64 v[48:49], v[60:61], v[48:49]
	v_fma_f64 v[60:61], v[10:11], s[10:11], -v[58:59]
	v_add_f64 v[50:51], v[234:235], v[50:51]
	v_fmac_f64_e32 v[58:59], s[10:11], v[10:11]
	v_mul_f64 v[56:57], v[56:57], s[42:43]
	v_add_f64 v[50:51], v[58:59], v[50:51]
	v_fma_f64 v[58:59], v[10:11], s[2:3], -v[56:57]
	v_fmac_f64_e32 v[56:57], s[2:3], v[10:11]
	v_add_f64 v[6:7], v[234:235], v[6:7]
	v_add_f64 v[54:55], v[234:235], v[54:55]
	;; [unrolled: 1-line block ×3, first 2 shown]
	v_add_f64 v[56:57], v[196:197], -v[238:239]
	v_add_f64 v[52:53], v[234:235], v[52:53]
	v_add_f64 v[54:55], v[58:59], v[54:55]
	;; [unrolled: 1-line block ×3, first 2 shown]
	v_mul_f64 v[58:59], v[56:57], s[38:39]
	v_add_f64 v[52:53], v[60:61], v[52:53]
	v_fma_f64 v[60:61], v[10:11], s[10:11], -v[58:59]
	v_fmac_f64_e32 v[58:59], s[10:11], v[10:11]
	v_add_f64 v[8:9], v[58:59], v[8:9]
	v_mul_f64 v[58:59], v[56:57], s[20:21]
	v_add_f64 v[2:3], v[60:61], v[2:3]
	v_fma_f64 v[60:61], v[10:11], s[22:23], -v[58:59]
	v_fmac_f64_e32 v[58:59], s[22:23], v[10:11]
	v_add_f64 v[12:13], v[58:59], v[12:13]
	v_mul_f64 v[58:59], v[56:57], s[54:55]
	v_add_f64 v[14:15], v[60:61], v[14:15]
	v_fma_f64 v[60:61], v[10:11], s[36:37], -v[58:59]
	v_fmac_f64_e32 v[58:59], s[36:37], v[10:11]
	v_add_f64 v[16:17], v[58:59], v[16:17]
	v_mul_f64 v[58:59], v[56:57], s[46:47]
	v_add_f64 v[18:19], v[60:61], v[18:19]
	v_fma_f64 v[60:61], v[10:11], s[18:19], -v[58:59]
	v_fmac_f64_e32 v[58:59], s[18:19], v[10:11]
	v_add_f64 v[20:21], v[58:59], v[20:21]
	v_mul_f64 v[58:59], v[56:57], s[44:45]
	v_add_f64 v[22:23], v[60:61], v[22:23]
	v_fma_f64 v[60:61], v[10:11], s[6:7], -v[58:59]
	v_fmac_f64_e32 v[58:59], s[6:7], v[10:11]
	v_add_f64 v[24:25], v[58:59], v[24:25]
	v_mul_f64 v[58:59], v[56:57], s[14:15]
	v_add_f64 v[26:27], v[60:61], v[26:27]
	v_fma_f64 v[60:61], v[10:11], s[2:3], -v[58:59]
	v_fmac_f64_e32 v[58:59], s[2:3], v[10:11]
	v_add_f64 v[40:41], v[58:59], v[40:41]
	v_mul_f64 v[58:59], v[56:57], s[26:27]
	v_add_f64 v[48:49], v[60:61], v[48:49]
	v_fma_f64 v[60:61], v[10:11], s[12:13], -v[58:59]
	v_fmac_f64_e32 v[58:59], s[12:13], v[10:11]
	v_mul_f64 v[56:57], v[56:57], s[28:29]
	v_add_f64 v[50:51], v[58:59], v[50:51]
	v_fma_f64 v[58:59], v[10:11], s[30:31], -v[56:57]
	v_fmac_f64_e32 v[56:57], s[30:31], v[10:11]
	v_add_f64 v[6:7], v[56:57], v[6:7]
	v_add_f64 v[56:57], v[192:193], -v[228:229]
	v_add_f64 v[54:55], v[58:59], v[54:55]
	v_add_f64 v[10:11], v[254:255], v[226:227]
	v_mul_f64 v[58:59], v[56:57], s[26:27]
	v_add_f64 v[52:53], v[60:61], v[52:53]
	v_fma_f64 v[60:61], v[10:11], s[12:13], -v[58:59]
	v_fmac_f64_e32 v[58:59], s[12:13], v[10:11]
	v_add_f64 v[8:9], v[58:59], v[8:9]
	v_mul_f64 v[58:59], v[56:57], s[34:35]
	v_add_f64 v[2:3], v[60:61], v[2:3]
	v_fma_f64 v[60:61], v[10:11], s[36:37], -v[58:59]
	v_fmac_f64_e32 v[58:59], s[36:37], v[10:11]
	v_add_f64 v[12:13], v[58:59], v[12:13]
	v_mul_f64 v[58:59], v[56:57], s[46:47]
	v_add_f64 v[14:15], v[60:61], v[14:15]
	v_fma_f64 v[60:61], v[10:11], s[18:19], -v[58:59]
	v_fmac_f64_e32 v[58:59], s[18:19], v[10:11]
	v_add_f64 v[16:17], v[58:59], v[16:17]
	v_mul_f64 v[58:59], v[56:57], s[42:43]
	v_add_f64 v[18:19], v[60:61], v[18:19]
	v_fma_f64 v[60:61], v[10:11], s[2:3], -v[58:59]
	v_fmac_f64_e32 v[58:59], s[2:3], v[10:11]
	v_add_f64 v[20:21], v[58:59], v[20:21]
	v_mul_f64 v[58:59], v[56:57], s[38:39]
	v_add_f64 v[22:23], v[60:61], v[22:23]
	v_fma_f64 v[60:61], v[10:11], s[10:11], -v[58:59]
	v_fmac_f64_e32 v[58:59], s[10:11], v[10:11]
	v_add_f64 v[24:25], v[58:59], v[24:25]
	v_mul_f64 v[58:59], v[56:57], s[28:29]
	v_add_f64 v[26:27], v[60:61], v[26:27]
	v_fma_f64 v[60:61], v[10:11], s[30:31], -v[58:59]
	v_fmac_f64_e32 v[58:59], s[30:31], v[10:11]
	v_add_f64 v[40:41], v[58:59], v[40:41]
	v_mul_f64 v[58:59], v[56:57], s[52:53]
	v_add_f64 v[48:49], v[60:61], v[48:49]
	v_fma_f64 v[60:61], v[10:11], s[22:23], -v[58:59]
	v_fmac_f64_e32 v[58:59], s[22:23], v[10:11]
	v_mul_f64 v[56:57], v[56:57], s[44:45]
	v_add_f64 v[50:51], v[58:59], v[50:51]
	v_fma_f64 v[58:59], v[10:11], s[6:7], -v[56:57]
	v_fmac_f64_e32 v[56:57], s[6:7], v[10:11]
	v_add_f64 v[6:7], v[56:57], v[6:7]
	v_add_f64 v[56:57], v[180:181], -v[224:225]
	v_add_f64 v[54:55], v[58:59], v[54:55]
	v_add_f64 v[10:11], v[168:169], v[222:223]
	v_mul_f64 v[58:59], v[56:57], s[16:17]
	v_add_f64 v[52:53], v[60:61], v[52:53]
	v_fma_f64 v[60:61], v[10:11], s[18:19], -v[58:59]
	v_fmac_f64_e32 v[58:59], s[18:19], v[10:11]
	v_add_f64 v[8:9], v[58:59], v[8:9]
	v_mul_f64 v[58:59], v[56:57], s[48:49]
	v_add_f64 v[2:3], v[60:61], v[2:3]
	v_fma_f64 v[60:61], v[10:11], s[30:31], -v[58:59]
	v_fmac_f64_e32 v[58:59], s[30:31], v[10:11]
	v_add_f64 v[12:13], v[58:59], v[12:13]
	v_mul_f64 v[58:59], v[56:57], s[44:45]
	v_add_f64 v[14:15], v[60:61], v[14:15]
	v_fma_f64 v[60:61], v[10:11], s[6:7], -v[58:59]
	v_fmac_f64_e32 v[58:59], s[6:7], v[10:11]
	v_add_f64 v[16:17], v[58:59], v[16:17]
	v_mul_f64 v[58:59], v[56:57], s[38:39]
	v_add_f64 v[18:19], v[60:61], v[18:19]
	v_fma_f64 v[60:61], v[10:11], s[10:11], -v[58:59]
	v_fmac_f64_e32 v[58:59], s[10:11], v[10:11]
	v_add_f64 v[20:21], v[58:59], v[20:21]
	v_mul_f64 v[58:59], v[56:57], s[34:35]
	v_add_f64 v[22:23], v[60:61], v[22:23]
	v_fma_f64 v[60:61], v[10:11], s[36:37], -v[58:59]
	v_fmac_f64_e32 v[58:59], s[36:37], v[10:11]
	v_add_f64 v[24:25], v[58:59], v[24:25]
	v_mul_f64 v[58:59], v[56:57], s[50:51]
	v_add_f64 v[26:27], v[60:61], v[26:27]
	v_fma_f64 v[60:61], v[10:11], s[12:13], -v[58:59]
	v_fmac_f64_e32 v[58:59], s[12:13], v[10:11]
	v_add_f64 v[40:41], v[58:59], v[40:41]
	v_mul_f64 v[58:59], v[56:57], s[14:15]
	v_add_f64 v[48:49], v[60:61], v[48:49]
	v_fma_f64 v[60:61], v[10:11], s[2:3], -v[58:59]
	v_fmac_f64_e32 v[58:59], s[2:3], v[10:11]
	v_mul_f64 v[56:57], v[56:57], s[20:21]
	v_add_f64 v[50:51], v[58:59], v[50:51]
	v_fma_f64 v[58:59], v[10:11], s[22:23], -v[56:57]
	v_fmac_f64_e32 v[56:57], s[22:23], v[10:11]
	v_add_f64 v[6:7], v[56:57], v[6:7]
	v_add_f64 v[56:57], v[182:183], -v[216:217]
	v_add_f64 v[54:55], v[58:59], v[54:55]
	v_add_f64 v[10:11], v[156:157], v[214:215]
	v_mul_f64 v[58:59], v[56:57], s[20:21]
	v_add_f64 v[52:53], v[60:61], v[52:53]
	v_fma_f64 v[60:61], v[10:11], s[22:23], -v[58:59]
	v_fmac_f64_e32 v[58:59], s[22:23], v[10:11]
	v_add_f64 v[8:9], v[58:59], v[8:9]
	v_mul_f64 v[58:59], v[56:57], s[46:47]
	v_add_f64 v[2:3], v[60:61], v[2:3]
	v_fma_f64 v[60:61], v[10:11], s[18:19], -v[58:59]
	v_fmac_f64_e32 v[58:59], s[18:19], v[10:11]
	v_add_f64 v[12:13], v[58:59], v[12:13]
	v_mul_f64 v[58:59], v[56:57], s[14:15]
	v_add_f64 v[14:15], v[60:61], v[14:15]
	v_fma_f64 v[60:61], v[10:11], s[2:3], -v[58:59]
	v_fmac_f64_e32 v[58:59], s[2:3], v[10:11]
	v_add_f64 v[16:17], v[58:59], v[16:17]
	v_mul_f64 v[58:59], v[56:57], s[28:29]
	v_add_f64 v[18:19], v[60:61], v[18:19]
	v_fma_f64 v[60:61], v[10:11], s[30:31], -v[58:59]
	v_fmac_f64_e32 v[58:59], s[30:31], v[10:11]
	v_add_f64 v[20:21], v[58:59], v[20:21]
	v_mul_f64 v[58:59], v[56:57], s[50:51]
	v_add_f64 v[22:23], v[60:61], v[22:23]
	v_fma_f64 v[60:61], v[10:11], s[12:13], -v[58:59]
	v_fmac_f64_e32 v[58:59], s[12:13], v[10:11]
	v_add_f64 v[24:25], v[58:59], v[24:25]
	v_mul_f64 v[58:59], v[56:57], s[24:25]
	v_add_f64 v[26:27], v[60:61], v[26:27]
	v_fma_f64 v[60:61], v[10:11], s[6:7], -v[58:59]
	v_fmac_f64_e32 v[58:59], s[6:7], v[10:11]
	v_add_f64 v[40:41], v[58:59], v[40:41]
	v_mul_f64 v[58:59], v[56:57], s[34:35]
	v_add_f64 v[48:49], v[60:61], v[48:49]
	v_fma_f64 v[60:61], v[10:11], s[36:37], -v[58:59]
	v_fmac_f64_e32 v[58:59], s[36:37], v[10:11]
	v_mul_f64 v[56:57], v[56:57], s[40:41]
	v_add_f64 v[50:51], v[58:59], v[50:51]
	v_fma_f64 v[58:59], v[10:11], s[10:11], -v[56:57]
	v_fmac_f64_e32 v[56:57], s[10:11], v[10:11]
	v_add_f64 v[6:7], v[56:57], v[6:7]
	v_add_f64 v[56:57], v[154:155], -v[204:205]
	v_add_f64 v[54:55], v[58:59], v[54:55]
	v_add_f64 v[10:11], v[158:159], v[202:203]
	v_mul_f64 v[58:59], v[56:57], s[28:29]
	v_add_f64 v[52:53], v[60:61], v[52:53]
	v_fma_f64 v[60:61], v[10:11], s[30:31], -v[58:59]
	v_fmac_f64_e32 v[58:59], s[30:31], v[10:11]
	v_add_f64 v[8:9], v[58:59], v[8:9]
	v_mul_f64 v[58:59], v[56:57], s[40:41]
	v_add_f64 v[2:3], v[60:61], v[2:3]
	v_fma_f64 v[60:61], v[10:11], s[10:11], -v[58:59]
	v_fmac_f64_e32 v[58:59], s[10:11], v[10:11]
	v_add_f64 v[12:13], v[58:59], v[12:13]
	;; [unrolled: 5-line block ×7, first 2 shown]
	v_mul_f64 v[16:17], v[56:57], s[16:17]
	v_add_f64 v[52:53], v[18:19], v[52:53]
	v_fma_f64 v[18:19], v[10:11], s[18:19], -v[16:17]
	v_fmac_f64_e32 v[16:17], s[18:19], v[10:11]
	v_add_f64 v[90:91], v[146:147], -v[142:143]
	v_add_f64 v[56:57], v[16:17], v[6:7]
	v_add_f64 v[88:89], v[150:151], v[140:141]
	v_mul_f64 v[6:7], v[90:91], s[34:35]
	v_fma_f64 v[10:11], v[88:89], s[36:37], -v[6:7]
	v_fmac_f64_e32 v[6:7], s[36:37], v[88:89]
	v_add_f64 v[54:55], v[18:19], v[54:55]
	v_add_f64 v[18:19], v[10:11], v[2:3]
	;; [unrolled: 1-line block ×3, first 2 shown]
	v_mul_f64 v[6:7], v[90:91], s[42:43]
	v_fma_f64 v[8:9], v[88:89], s[2:3], -v[6:7]
	v_add_f64 v[16:17], v[8:9], v[14:15]
	v_mul_f64 v[8:9], v[90:91], s[28:29]
	v_fma_f64 v[10:11], v[88:89], s[30:31], -v[8:9]
	v_fmac_f64_e32 v[6:7], s[2:3], v[88:89]
	v_add_f64 v[22:23], v[10:11], v[60:61]
	v_mul_f64 v[10:11], v[90:91], s[44:45]
	v_add_f64 v[6:7], v[6:7], v[12:13]
	v_fma_f64 v[12:13], v[88:89], s[6:7], -v[10:11]
	v_add_f64 v[20:21], v[12:13], v[64:65]
	v_mul_f64 v[12:13], v[90:91], s[20:21]
	v_fma_f64 v[14:15], v[88:89], s[22:23], -v[12:13]
	v_add_f64 v[40:41], v[14:15], v[26:27]
	v_fmac_f64_e32 v[12:13], s[22:23], v[88:89]
	v_mul_f64 v[14:15], v[90:91], s[40:41]
	v_add_f64 v[12:13], v[12:13], v[24:25]
	v_fma_f64 v[24:25], v[88:89], s[10:11], -v[14:15]
	v_mul_f64 v[26:27], v[90:91], s[16:17]
	v_add_f64 v[24:25], v[24:25], v[48:49]
	v_fma_f64 v[48:49], v[88:89], s[18:19], -v[26:27]
	v_fmac_f64_e32 v[26:27], s[18:19], v[88:89]
	v_add_f64 v[50:51], v[26:27], v[50:51]
	v_mul_f64 v[26:27], v[90:91], s[50:51]
	v_add_f64 v[48:49], v[48:49], v[52:53]
	v_fma_f64 v[52:53], v[88:89], s[12:13], -v[26:27]
	v_fmac_f64_e32 v[26:27], s[12:13], v[88:89]
	v_add_f64 v[52:53], v[52:53], v[54:55]
	v_add_f64 v[54:55], v[26:27], v[56:57]
	v_mov_b32_e32 v90, 3
	v_accvgpr_read_b32 v27, a9
	v_mad_u32_u24 v26, v237, s33, 0
	v_lshlrev_b32_sdwa v27, v90, v27 dst_sel:DWORD dst_unused:UNUSED_PAD src0_sel:DWORD src1_sel:BYTE_0
	v_accvgpr_read_b32 v237, a8
	v_add3_u32 v109, v26, v27, v237
	v_add_f64 v[26:27], v[234:235], v[198:199]
	v_add_f64 v[26:27], v[26:27], v[190:191]
	;; [unrolled: 1-line block ×4, first 2 shown]
	v_mov_b64_e32 v[254:255], v[156:157]
	v_add_f64 v[26:27], v[26:27], v[168:169]
	v_add_f64 v[26:27], v[26:27], v[254:255]
	;; [unrolled: 1-line block ×11, first 2 shown]
	v_fmac_f64_e32 v[8:9], s[30:31], v[88:89]
	v_fmac_f64_e32 v[10:11], s[6:7], v[88:89]
	;; [unrolled: 1-line block ×3, first 2 shown]
	v_add_f64 v[26:27], v[26:27], v[244:245]
	v_add_f64 v[56:57], v[176:177], -v[38:39]
	v_add_f64 v[8:9], v[8:9], v[58:59]
	v_add_f64 v[10:11], v[10:11], v[66:67]
	;; [unrolled: 1-line block ×3, first 2 shown]
	ds_write2_b64 v109, v[26:27], v[18:19] offset1:7
	v_add_f64 v[18:19], v[30:31], v[92:93]
	ds_write2_b64 v109, v[16:17], v[22:23] offset0:14 offset1:21
	v_mul_f64 v[16:17], v[56:57], s[14:15]
	v_fmac_f64_e32 v[134:135], v[32:33], v[162:163]
	v_fma_f64 v[58:59], v[18:19], s[2:3], -v[16:17]
	ds_write2_b64 v109, v[20:21], v[40:41] offset0:28 offset1:35
	v_mul_f64 v[20:21], v[56:57], s[24:25]
	ds_write2_b64 v109, v[24:25], v[48:49] offset0:42 offset1:49
	v_mul_f64 v[22:23], v[56:57], s[38:39]
	v_mul_f64 v[24:25], v[56:57], s[26:27]
	ds_write2_b64 v109, v[50:51], v[14:15] offset0:70 offset1:77
	v_mul_f64 v[14:15], v[56:57], s[16:17]
	ds_write2_b64 v109, v[12:13], v[10:11] offset0:84 offset1:91
	;; [unrolled: 2-line block ×3, first 2 shown]
	v_mul_f64 v[6:7], v[56:57], s[28:29]
	v_mul_f64 v[26:27], v[56:57], s[34:35]
	v_accvgpr_read_b32 v33, a17
	v_fmac_f64_e32 v[16:17], s[2:3], v[18:19]
	v_fma_f64 v[40:41], v[18:19], s[6:7], -v[20:21]
	v_fmac_f64_e32 v[20:21], s[6:7], v[18:19]
	v_fma_f64 v[48:49], v[18:19], s[10:11], -v[22:23]
	v_fmac_f64_e32 v[22:23], s[10:11], v[18:19]
	ds_write2_b64 v109, v[52:53], v[54:55] offset0:56 offset1:63
	v_fma_f64 v[52:53], v[18:19], s[12:13], -v[24:25]
	v_fmac_f64_e32 v[24:25], s[12:13], v[18:19]
	v_fma_f64 v[50:51], v[18:19], s[18:19], -v[14:15]
	v_fmac_f64_e32 v[14:15], s[18:19], v[18:19]
	;; [unrolled: 2-line block ×5, first 2 shown]
	v_add_f64 v[18:19], v[232:233], v[58:59]
	v_accvgpr_read_b32 v32, a16
	v_add_f64 v[58:59], v[178:179], -v[46:47]
	v_add_f64 v[56:57], v[32:33], v[220:221]
	v_mul_f64 v[60:61], v[58:59], s[24:25]
	v_fma_f64 v[64:65], v[56:57], s[6:7], -v[60:61]
	v_add_f64 v[16:17], v[232:233], v[16:17]
	v_fmac_f64_e32 v[60:61], s[6:7], v[56:57]
	v_add_f64 v[16:17], v[60:61], v[16:17]
	v_mul_f64 v[60:61], v[58:59], s[26:27]
	v_add_f64 v[18:19], v[64:65], v[18:19]
	v_fma_f64 v[64:65], v[56:57], s[12:13], -v[60:61]
	v_add_f64 v[20:21], v[232:233], v[20:21]
	v_fmac_f64_e32 v[60:61], s[12:13], v[56:57]
	v_add_f64 v[40:41], v[232:233], v[40:41]
	v_add_f64 v[20:21], v[60:61], v[20:21]
	v_mul_f64 v[60:61], v[58:59], s[20:21]
	v_add_f64 v[40:41], v[64:65], v[40:41]
	v_fma_f64 v[64:65], v[56:57], s[22:23], -v[60:61]
	v_add_f64 v[22:23], v[232:233], v[22:23]
	v_fmac_f64_e32 v[60:61], s[22:23], v[56:57]
	v_add_f64 v[48:49], v[232:233], v[48:49]
	;; [unrolled: 7-line block ×5, first 2 shown]
	v_add_f64 v[10:11], v[60:61], v[10:11]
	v_mul_f64 v[60:61], v[58:59], s[40:41]
	v_add_f64 v[12:13], v[64:65], v[12:13]
	v_fma_f64 v[64:65], v[56:57], s[10:11], -v[60:61]
	v_add_f64 v[6:7], v[232:233], v[6:7]
	v_fmac_f64_e32 v[60:61], s[10:11], v[56:57]
	v_mul_f64 v[58:59], v[58:59], s[42:43]
	v_add_f64 v[6:7], v[60:61], v[6:7]
	v_fma_f64 v[60:61], v[56:57], s[2:3], -v[58:59]
	v_fmac_f64_e32 v[58:59], s[2:3], v[56:57]
	v_add_f64 v[26:27], v[232:233], v[26:27]
	v_accvgpr_read_b32 v35, a13
	v_add_f64 v[54:55], v[232:233], v[54:55]
	v_add_f64 v[26:27], v[58:59], v[26:27]
	v_accvgpr_read_b32 v34, a12
	v_add_f64 v[58:59], v[170:171], -v[208:209]
	v_add_f64 v[8:9], v[232:233], v[8:9]
	v_add_f64 v[54:55], v[60:61], v[54:55]
	;; [unrolled: 1-line block ×3, first 2 shown]
	v_mul_f64 v[60:61], v[58:59], s[38:39]
	v_add_f64 v[8:9], v[64:65], v[8:9]
	v_fma_f64 v[64:65], v[56:57], s[10:11], -v[60:61]
	v_fmac_f64_e32 v[60:61], s[10:11], v[56:57]
	v_add_f64 v[16:17], v[60:61], v[16:17]
	v_mul_f64 v[60:61], v[58:59], s[20:21]
	v_add_f64 v[18:19], v[64:65], v[18:19]
	v_fma_f64 v[64:65], v[56:57], s[22:23], -v[60:61]
	v_fmac_f64_e32 v[60:61], s[22:23], v[56:57]
	v_add_f64 v[20:21], v[60:61], v[20:21]
	v_mul_f64 v[60:61], v[58:59], s[54:55]
	v_add_f64 v[40:41], v[64:65], v[40:41]
	v_fma_f64 v[64:65], v[56:57], s[36:37], -v[60:61]
	v_fmac_f64_e32 v[60:61], s[36:37], v[56:57]
	v_add_f64 v[22:23], v[60:61], v[22:23]
	v_mul_f64 v[60:61], v[58:59], s[46:47]
	v_add_f64 v[48:49], v[64:65], v[48:49]
	v_fma_f64 v[64:65], v[56:57], s[18:19], -v[60:61]
	v_fmac_f64_e32 v[60:61], s[18:19], v[56:57]
	v_add_f64 v[24:25], v[60:61], v[24:25]
	v_mul_f64 v[60:61], v[58:59], s[44:45]
	v_add_f64 v[52:53], v[64:65], v[52:53]
	v_fma_f64 v[64:65], v[56:57], s[6:7], -v[60:61]
	v_fmac_f64_e32 v[60:61], s[6:7], v[56:57]
	v_add_f64 v[14:15], v[60:61], v[14:15]
	v_mul_f64 v[60:61], v[58:59], s[14:15]
	v_add_f64 v[50:51], v[64:65], v[50:51]
	v_fma_f64 v[64:65], v[56:57], s[2:3], -v[60:61]
	v_fmac_f64_e32 v[60:61], s[2:3], v[56:57]
	v_add_f64 v[10:11], v[60:61], v[10:11]
	v_mul_f64 v[60:61], v[58:59], s[26:27]
	v_add_f64 v[12:13], v[64:65], v[12:13]
	v_fma_f64 v[64:65], v[56:57], s[12:13], -v[60:61]
	v_fmac_f64_e32 v[60:61], s[12:13], v[56:57]
	v_mul_f64 v[58:59], v[58:59], s[28:29]
	v_add_f64 v[6:7], v[60:61], v[6:7]
	v_fma_f64 v[60:61], v[56:57], s[30:31], -v[58:59]
	v_fmac_f64_e32 v[58:59], s[30:31], v[56:57]
	v_add_f64 v[26:27], v[58:59], v[26:27]
	v_add_f64 v[58:59], v[166:167], -v[138:139]
	v_add_f64 v[54:55], v[60:61], v[54:55]
	v_add_f64 v[56:57], v[42:43], v[136:137]
	v_mul_f64 v[60:61], v[58:59], s[26:27]
	v_add_f64 v[8:9], v[64:65], v[8:9]
	v_fma_f64 v[64:65], v[56:57], s[12:13], -v[60:61]
	v_fmac_f64_e32 v[60:61], s[12:13], v[56:57]
	v_add_f64 v[16:17], v[60:61], v[16:17]
	v_mul_f64 v[60:61], v[58:59], s[34:35]
	v_add_f64 v[18:19], v[64:65], v[18:19]
	v_fma_f64 v[64:65], v[56:57], s[36:37], -v[60:61]
	v_fmac_f64_e32 v[60:61], s[36:37], v[56:57]
	;; [unrolled: 5-line block ×7, first 2 shown]
	v_mul_f64 v[58:59], v[58:59], s[44:45]
	v_add_f64 v[6:7], v[60:61], v[6:7]
	v_fma_f64 v[60:61], v[56:57], s[6:7], -v[58:59]
	v_fmac_f64_e32 v[58:59], s[6:7], v[56:57]
	v_add_f64 v[26:27], v[58:59], v[26:27]
	v_add_f64 v[58:59], v[160:161], -v[74:75]
	v_add_f64 v[54:55], v[60:61], v[54:55]
	v_add_f64 v[56:57], v[194:195], v[72:73]
	v_mul_f64 v[60:61], v[58:59], s[16:17]
	v_add_f64 v[8:9], v[64:65], v[8:9]
	v_fma_f64 v[64:65], v[56:57], s[18:19], -v[60:61]
	v_fmac_f64_e32 v[60:61], s[18:19], v[56:57]
	v_add_f64 v[16:17], v[60:61], v[16:17]
	v_mul_f64 v[60:61], v[58:59], s[48:49]
	v_add_f64 v[18:19], v[64:65], v[18:19]
	v_fma_f64 v[64:65], v[56:57], s[30:31], -v[60:61]
	v_fmac_f64_e32 v[60:61], s[30:31], v[56:57]
	;; [unrolled: 5-line block ×7, first 2 shown]
	v_mul_f64 v[58:59], v[58:59], s[20:21]
	v_add_f64 v[6:7], v[60:61], v[6:7]
	v_fma_f64 v[60:61], v[56:57], s[22:23], -v[58:59]
	v_fmac_f64_e32 v[58:59], s[22:23], v[56:57]
	v_accvgpr_read_b32 v157, a15
	v_add_f64 v[26:27], v[58:59], v[26:27]
	v_accvgpr_read_b32 v156, a14
	v_add_f64 v[58:59], v[152:153], -v[132:133]
	v_add_f64 v[54:55], v[60:61], v[54:55]
	v_add_f64 v[56:57], v[156:157], v[144:145]
	v_mul_f64 v[60:61], v[58:59], s[20:21]
	v_add_f64 v[8:9], v[64:65], v[8:9]
	v_fma_f64 v[64:65], v[56:57], s[22:23], -v[60:61]
	v_fmac_f64_e32 v[60:61], s[22:23], v[56:57]
	v_add_f64 v[16:17], v[60:61], v[16:17]
	v_mul_f64 v[60:61], v[58:59], s[46:47]
	v_add_f64 v[18:19], v[64:65], v[18:19]
	v_fma_f64 v[64:65], v[56:57], s[18:19], -v[60:61]
	v_fmac_f64_e32 v[60:61], s[18:19], v[56:57]
	v_add_f64 v[20:21], v[60:61], v[20:21]
	v_mul_f64 v[60:61], v[58:59], s[14:15]
	v_add_f64 v[40:41], v[64:65], v[40:41]
	v_fma_f64 v[64:65], v[56:57], s[2:3], -v[60:61]
	v_fmac_f64_e32 v[60:61], s[2:3], v[56:57]
	v_add_f64 v[22:23], v[60:61], v[22:23]
	v_mul_f64 v[60:61], v[58:59], s[28:29]
	v_add_f64 v[48:49], v[64:65], v[48:49]
	v_fma_f64 v[64:65], v[56:57], s[30:31], -v[60:61]
	v_fmac_f64_e32 v[60:61], s[30:31], v[56:57]
	v_add_f64 v[24:25], v[60:61], v[24:25]
	v_mul_f64 v[60:61], v[58:59], s[50:51]
	v_add_f64 v[52:53], v[64:65], v[52:53]
	v_fma_f64 v[64:65], v[56:57], s[12:13], -v[60:61]
	v_fmac_f64_e32 v[60:61], s[12:13], v[56:57]
	v_add_f64 v[14:15], v[60:61], v[14:15]
	v_mul_f64 v[60:61], v[58:59], s[24:25]
	v_add_f64 v[50:51], v[64:65], v[50:51]
	v_fma_f64 v[64:65], v[56:57], s[6:7], -v[60:61]
	v_fmac_f64_e32 v[60:61], s[6:7], v[56:57]
	v_add_f64 v[10:11], v[60:61], v[10:11]
	v_mul_f64 v[60:61], v[58:59], s[34:35]
	v_add_f64 v[12:13], v[64:65], v[12:13]
	v_fma_f64 v[64:65], v[56:57], s[36:37], -v[60:61]
	v_fmac_f64_e32 v[60:61], s[36:37], v[56:57]
	v_mul_f64 v[58:59], v[58:59], s[40:41]
	v_add_f64 v[6:7], v[60:61], v[6:7]
	v_fma_f64 v[60:61], v[56:57], s[10:11], -v[58:59]
	v_fmac_f64_e32 v[58:59], s[10:11], v[56:57]
	v_add_f64 v[26:27], v[58:59], v[26:27]
	v_add_f64 v[58:59], v[122:123], -v[82:83]
	v_add_f64 v[54:55], v[60:61], v[54:55]
	v_add_f64 v[56:57], v[148:149], v[114:115]
	v_mul_f64 v[60:61], v[58:59], s[28:29]
	v_add_f64 v[8:9], v[64:65], v[8:9]
	v_fma_f64 v[64:65], v[56:57], s[30:31], -v[60:61]
	v_fmac_f64_e32 v[60:61], s[30:31], v[56:57]
	v_add_f64 v[16:17], v[60:61], v[16:17]
	v_mul_f64 v[60:61], v[58:59], s[40:41]
	v_add_f64 v[18:19], v[64:65], v[18:19]
	v_fma_f64 v[64:65], v[56:57], s[10:11], -v[60:61]
	v_fmac_f64_e32 v[60:61], s[10:11], v[56:57]
	v_add_f64 v[20:21], v[60:61], v[20:21]
	v_mul_f64 v[60:61], v[58:59], s[26:27]
	v_add_f64 v[40:41], v[64:65], v[40:41]
	v_fma_f64 v[64:65], v[56:57], s[12:13], -v[60:61]
	v_fmac_f64_e32 v[60:61], s[12:13], v[56:57]
	v_add_f64 v[22:23], v[60:61], v[22:23]
	v_mul_f64 v[60:61], v[58:59], s[52:53]
	v_add_f64 v[48:49], v[64:65], v[48:49]
	v_fma_f64 v[64:65], v[56:57], s[22:23], -v[60:61]
	v_fmac_f64_e32 v[60:61], s[22:23], v[56:57]
	v_add_f64 v[24:25], v[60:61], v[24:25]
	v_mul_f64 v[60:61], v[58:59], s[14:15]
	v_add_f64 v[52:53], v[64:65], v[52:53]
	v_fma_f64 v[64:65], v[56:57], s[2:3], -v[60:61]
	v_fmac_f64_e32 v[60:61], s[2:3], v[56:57]
	v_add_f64 v[14:15], v[60:61], v[14:15]
	v_mul_f64 v[60:61], v[58:59], s[34:35]
	v_add_f64 v[50:51], v[64:65], v[50:51]
	v_fma_f64 v[64:65], v[56:57], s[36:37], -v[60:61]
	v_fmac_f64_e32 v[60:61], s[36:37], v[56:57]
	v_add_f64 v[10:11], v[60:61], v[10:11]
	v_mul_f64 v[60:61], v[58:59], s[44:45]
	v_add_f64 v[12:13], v[64:65], v[12:13]
	v_fma_f64 v[64:65], v[56:57], s[6:7], -v[60:61]
	v_fmac_f64_e32 v[60:61], s[6:7], v[56:57]
	v_mul_f64 v[58:59], v[58:59], s[16:17]
	v_add_f64 v[6:7], v[60:61], v[6:7]
	v_fma_f64 v[60:61], v[56:57], s[18:19], -v[58:59]
	v_fmac_f64_e32 v[58:59], s[18:19], v[56:57]
	v_add_f64 v[26:27], v[58:59], v[26:27]
	;; [unrolled: 42-line block ×3, first 2 shown]
	v_accvgpr_read_b32 v31, a17
	v_accvgpr_read_b32 v30, a16
	v_add_f64 v[56:57], v[56:57], v[30:31]
	v_accvgpr_read_b32 v31, a13
	v_accvgpr_read_b32 v30, a12
	v_add_f64 v[56:57], v[56:57], v[30:31]
	v_mov_b64_e32 v[30:31], v[42:43]
	v_add_f64 v[56:57], v[56:57], v[30:31]
	v_add_f64 v[56:57], v[56:57], v[194:195]
	;; [unrolled: 1-line block ×10, first 2 shown]
	v_accvgpr_mov_b32 a15, a13
	v_add_f64 v[56:57], v[56:57], v[206:207]
	ds_write_b64 v109, v[2:3] offset:896
	v_accvgpr_read_b32 v2, a30
	v_accvgpr_read_b32 v3, a31
	v_accvgpr_mov_b32 a14, a12
	v_accvgpr_write_b32 a12, v42
	v_accvgpr_write_b32 a8, v194
	v_add_f64 v[56:57], v[56:57], v[220:221]
	v_mad_u32_u24 v2, v2, s33, 0
	v_lshlrev_b32_sdwa v3, v90, v3 dst_sel:DWORD dst_unused:UNUSED_PAD src0_sel:DWORD src1_sel:BYTE_0
	v_accvgpr_write_b32 a13, v43
	v_accvgpr_write_b32 a9, v195
	v_add_f64 v[56:57], v[56:57], v[92:93]
	v_add3_u32 v234, v2, v3, v237
	v_add_f64 v[8:9], v[64:65], v[8:9]
	v_add_f64 v[54:55], v[60:61], v[54:55]
	;; [unrolled: 1-line block ×3, first 2 shown]
	ds_write2_b64 v234, v[56:57], v[18:19] offset1:7
	ds_write2_b64 v234, v[40:41], v[48:49] offset0:14 offset1:21
	ds_write2_b64 v234, v[52:53], v[50:51] offset0:28 offset1:35
	;; [unrolled: 1-line block ×7, first 2 shown]
	ds_write_b64 v234, v[16:17] offset:896
	s_and_saveexec_b64 s[56:57], s[0:1]
	s_cbranch_execz .LBB0_18
; %bb.17:
	v_accvgpr_write_b32 a68, v136
	v_accvgpr_write_b32 a70, v202
	;; [unrolled: 1-line block ×4, first 2 shown]
	v_accvgpr_read_b32 v137, a67
	v_accvgpr_write_b32 a44, v72
	v_accvgpr_write_b32 a30, v114
	;; [unrolled: 1-line block ×4, first 2 shown]
	v_mov_b64_e32 v[202:203], v[164:165]
	v_accvgpr_write_b32 a51, v151
	v_accvgpr_read_b32 v151, a35
	v_accvgpr_read_b32 v136, a66
	v_add_f64 v[60:61], v[212:213], -v[218:219]
	v_accvgpr_write_b32 a45, v73
	v_accvgpr_read_b32 v73, a29
	v_accvgpr_write_b32 a38, v144
	v_accvgpr_write_b32 a31, v115
	v_accvgpr_read_b32 v115, a27
	v_accvgpr_write_b32 a63, v141
	v_accvgpr_read_b32 v141, a61
	v_accvgpr_read_b32 v150, a34
	v_add_f64 v[56:57], v[102:103], -v[184:185]
	v_add_f64 v[22:23], v[136:137], v[202:203]
	v_mul_f64 v[232:233], v[60:61], s[34:35]
	v_accvgpr_read_b32 v191, a21
	v_accvgpr_read_b32 v72, a28
	v_accvgpr_write_b32 a39, v145
	v_accvgpr_read_b32 v145, a33
	v_accvgpr_read_b32 v114, a26
	;; [unrolled: 1-line block ×3, first 2 shown]
	v_add_f64 v[54:55], v[70:71], -v[134:135]
	v_add_f64 v[20:21], v[150:151], v[124:125]
	v_mul_f64 v[186:187], v[56:57], s[42:43]
	v_accvgpr_write_b32 a42, v210
	v_fma_f64 v[248:249], s[36:37], v[22:23], v[232:233]
	v_accvgpr_read_b32 v190, a20
	v_add_f64 v[12:13], v[72:73], v[210:211]
	v_accvgpr_read_b32 v144, a32
	v_add_f64 v[52:53], v[96:97], -v[126:127]
	v_add_f64 v[16:17], v[114:115], v[140:141]
	v_mul_f64 v[164:165], v[54:55], s[28:29]
	v_accvgpr_write_b32 a40, v174
	v_accvgpr_write_b32 a43, v211
	v_fma_f64 v[210:211], s[2:3], v[20:21], v[186:187]
	v_add_f64 v[248:249], v[4:5], v[248:249]
	v_add_f64 v[10:11], v[190:191], v[174:175]
	v_add_f64 v[50:51], v[78:79], -v[110:111]
	v_add_f64 v[14:15], v[144:145], v[130:131]
	v_mul_f64 v[128:129], v[52:53], s[44:45]
	v_accvgpr_write_b32 a41, v175
	v_fma_f64 v[174:175], s[30:31], v[16:17], v[164:165]
	v_add_f64 v[210:211], v[210:211], v[248:249]
	v_accvgpr_read_b32 v199, a25
	v_add_f64 v[48:49], v[36:37], -v[106:107]
	v_mul_f64 v[80:81], v[50:51], s[20:21]
	v_fma_f64 v[162:163], s[6:7], v[14:15], v[128:129]
	v_add_f64 v[174:175], v[174:175], v[210:211]
	v_accvgpr_read_b32 v198, a24
	v_add_f64 v[40:41], v[68:69], -v[98:99]
	v_mul_f64 v[64:65], v[48:49], s[40:41]
	v_fma_f64 v[88:89], s[22:23], v[12:13], v[80:81]
	v_add_f64 v[162:163], v[162:163], v[174:175]
	v_accvgpr_read_b32 v169, a19
	v_accvgpr_read_b32 v195, a23
	v_add_f64 v[8:9], v[198:199], v[172:173]
	v_mul_f64 v[26:27], v[40:41], s[16:17]
	v_fma_f64 v[66:67], s[10:11], v[10:11], v[64:65]
	v_add_f64 v[88:89], v[88:89], v[162:163]
	v_accvgpr_read_b32 v168, a18
	v_accvgpr_read_b32 v194, a22
	v_add_f64 v[24:25], v[28:29], -v[44:45]
	v_fma_f64 v[58:59], s[18:19], v[8:9], v[26:27]
	v_add_f64 v[66:67], v[66:67], v[88:89]
	v_add_f64 v[6:7], v[168:169], v[194:195]
	v_mul_f64 v[18:19], v[24:25], s[50:51]
	v_add_f64 v[58:59], v[58:59], v[66:67]
	v_fma_f64 v[66:67], v[14:15], s[6:7], -v[128:129]
	v_fma_f64 v[128:129], v[22:23], s[36:37], -v[232:233]
	v_mul_f64 v[250:251], v[60:61], s[28:29]
	v_fma_f64 v[2:3], s[12:13], v[6:7], v[18:19]
	v_fma_f64 v[88:89], v[20:21], s[2:3], -v[186:187]
	v_add_f64 v[128:129], v[4:5], v[128:129]
	v_mul_f64 v[232:233], v[56:57], s[40:41]
	v_fma_f64 v[42:43], s[30:31], v[22:23], v[250:251]
	v_add_f64 v[2:3], v[2:3], v[58:59]
	v_fma_f64 v[58:59], v[10:11], s[10:11], -v[64:65]
	v_fma_f64 v[64:65], v[12:13], s[22:23], -v[80:81]
	;; [unrolled: 1-line block ×3, first 2 shown]
	v_add_f64 v[88:89], v[88:89], v[128:129]
	v_mul_f64 v[186:187], v[54:55], s[26:27]
	v_fma_f64 v[248:249], s[10:11], v[20:21], v[232:233]
	v_add_f64 v[42:43], v[4:5], v[42:43]
	v_add_f64 v[80:81], v[80:81], v[88:89]
	v_mul_f64 v[164:165], v[52:53], s[52:53]
	v_fma_f64 v[210:211], s[12:13], v[16:17], v[186:187]
	v_add_f64 v[42:43], v[248:249], v[42:43]
	;; [unrolled: 4-line block ×4, first 2 shown]
	v_fma_f64 v[26:27], v[8:9], s[18:19], -v[26:27]
	v_add_f64 v[58:59], v[58:59], v[64:65]
	v_mul_f64 v[64:65], v[40:41], s[44:45]
	v_fma_f64 v[88:89], s[36:37], v[10:11], v[80:81]
	v_add_f64 v[42:43], v[162:163], v[42:43]
	v_fma_f64 v[18:19], v[6:7], s[12:13], -v[18:19]
	v_add_f64 v[26:27], v[26:27], v[58:59]
	v_fma_f64 v[66:67], s[6:7], v[8:9], v[64:65]
	v_add_f64 v[42:43], v[88:89], v[42:43]
	v_fma_f64 v[162:163], v[22:23], s[30:31], -v[250:251]
	v_add_f64 v[18:19], v[18:19], v[26:27]
	v_mul_f64 v[26:27], v[24:25], s[16:17]
	v_add_f64 v[42:43], v[66:67], v[42:43]
	v_fma_f64 v[66:67], v[12:13], s[2:3], -v[128:129]
	v_fma_f64 v[128:129], v[20:21], s[10:11], -v[232:233]
	v_add_f64 v[162:163], v[4:5], v[162:163]
	v_mul_f64 v[94:95], v[60:61], s[20:21]
	v_fma_f64 v[58:59], s[18:19], v[6:7], v[26:27]
	v_fma_f64 v[88:89], v[16:17], s[12:13], -v[186:187]
	v_add_f64 v[128:129], v[128:129], v[162:163]
	v_mul_f64 v[248:249], v[56:57], s[46:47]
	v_fma_f64 v[100:101], s[22:23], v[22:23], v[94:95]
	v_add_f64 v[58:59], v[58:59], v[42:43]
	v_fma_f64 v[42:43], v[8:9], s[6:7], -v[64:65]
	v_fma_f64 v[64:65], v[10:11], s[36:37], -v[80:81]
	;; [unrolled: 1-line block ×3, first 2 shown]
	v_add_f64 v[88:89], v[88:89], v[128:129]
	v_mul_f64 v[210:211], v[54:55], s[14:15]
	v_fma_f64 v[250:251], s[18:19], v[20:21], v[248:249]
	v_add_f64 v[100:101], v[4:5], v[100:101]
	v_add_f64 v[80:81], v[80:81], v[88:89]
	v_mul_f64 v[174:175], v[52:53], s[28:29]
	v_fma_f64 v[232:233], s[2:3], v[16:17], v[210:211]
	v_add_f64 v[100:101], v[250:251], v[100:101]
	v_add_f64 v[66:67], v[66:67], v[80:81]
	v_mul_f64 v[162:163], v[50:51], s[50:51]
	v_fma_f64 v[186:187], s[30:31], v[14:15], v[174:175]
	v_add_f64 v[100:101], v[232:233], v[100:101]
	v_add_f64 v[64:65], v[64:65], v[66:67]
	v_mul_f64 v[80:81], v[48:49], s[24:25]
	v_fma_f64 v[164:165], s[12:13], v[12:13], v[162:163]
	v_add_f64 v[100:101], v[186:187], v[100:101]
	v_fma_f64 v[26:27], v[6:7], s[18:19], -v[26:27]
	v_add_f64 v[42:43], v[42:43], v[64:65]
	v_mul_f64 v[64:65], v[40:41], s[34:35]
	v_fma_f64 v[128:129], s[6:7], v[10:11], v[80:81]
	v_add_f64 v[100:101], v[164:165], v[100:101]
	v_add_f64 v[88:89], v[26:27], v[42:43]
	v_mul_f64 v[26:27], v[24:25], s[40:41]
	v_fma_f64 v[66:67], s[36:37], v[8:9], v[64:65]
	v_add_f64 v[100:101], v[128:129], v[100:101]
	v_fma_f64 v[42:43], s[10:11], v[6:7], v[26:27]
	v_add_f64 v[66:67], v[66:67], v[100:101]
	v_fma_f64 v[94:95], v[22:23], s[22:23], -v[94:95]
	v_add_f64 v[42:43], v[42:43], v[66:67]
	v_fma_f64 v[66:67], v[10:11], s[6:7], -v[80:81]
	v_fma_f64 v[80:81], v[12:13], s[12:13], -v[162:163]
	;; [unrolled: 1-line block ×3, first 2 shown]
	v_add_f64 v[94:95], v[4:5], v[94:95]
	v_mul_f64 v[62:63], v[60:61], s[16:17]
	v_fma_f64 v[128:129], v[16:17], s[2:3], -v[210:211]
	v_add_f64 v[94:95], v[162:163], v[94:95]
	v_mul_f64 v[248:249], v[56:57], s[48:49]
	v_fma_f64 v[104:105], s[18:19], v[22:23], v[62:63]
	v_fma_f64 v[100:101], v[14:15], s[30:31], -v[174:175]
	v_add_f64 v[94:95], v[128:129], v[94:95]
	v_mul_f64 v[210:211], v[54:55], s[44:45]
	v_fma_f64 v[250:251], s[30:31], v[20:21], v[248:249]
	v_add_f64 v[104:105], v[4:5], v[104:105]
	v_add_f64 v[94:95], v[100:101], v[94:95]
	v_mul_f64 v[174:175], v[52:53], s[38:39]
	v_fma_f64 v[232:233], s[6:7], v[16:17], v[210:211]
	v_add_f64 v[104:105], v[250:251], v[104:105]
	;; [unrolled: 4-line block ×3, first 2 shown]
	v_fma_f64 v[64:65], v[8:9], s[36:37], -v[64:65]
	v_add_f64 v[66:67], v[66:67], v[80:81]
	v_mul_f64 v[100:101], v[48:49], s[50:51]
	v_fma_f64 v[164:165], s[36:37], v[12:13], v[162:163]
	v_add_f64 v[104:105], v[186:187], v[104:105]
	v_fma_f64 v[26:27], v[6:7], s[10:11], -v[26:27]
	v_add_f64 v[64:65], v[64:65], v[66:67]
	v_mul_f64 v[80:81], v[40:41], s[14:15]
	v_fma_f64 v[128:129], s[12:13], v[10:11], v[100:101]
	v_add_f64 v[104:105], v[164:165], v[104:105]
	v_add_f64 v[26:27], v[26:27], v[64:65]
	v_mul_f64 v[64:65], v[24:25], s[20:21]
	v_fma_f64 v[94:95], s[2:3], v[8:9], v[80:81]
	v_add_f64 v[104:105], v[128:129], v[104:105]
	v_fma_f64 v[66:67], s[22:23], v[6:7], v[64:65]
	v_add_f64 v[94:95], v[94:95], v[104:105]
	v_fma_f64 v[62:63], v[22:23], s[18:19], -v[62:63]
	v_add_f64 v[66:67], v[66:67], v[94:95]
	v_fma_f64 v[94:95], v[10:11], s[12:13], -v[100:101]
	v_fma_f64 v[100:101], v[12:13], s[36:37], -v[162:163]
	;; [unrolled: 1-line block ×3, first 2 shown]
	v_add_f64 v[62:63], v[4:5], v[62:63]
	v_mul_f64 v[30:31], v[60:61], s[26:27]
	v_accvgpr_write_b32 a64, v124
	v_fma_f64 v[128:129], v[16:17], s[6:7], -v[210:211]
	v_add_f64 v[62:63], v[162:163], v[62:63]
	v_mul_f64 v[248:249], v[56:57], s[34:35]
	v_accvgpr_write_b32 a65, v125
	v_fma_f64 v[124:125], s[12:13], v[22:23], v[30:31]
	v_fma_f64 v[104:105], v[14:15], s[10:11], -v[174:175]
	v_add_f64 v[62:63], v[128:129], v[62:63]
	v_mul_f64 v[210:211], v[54:55], s[46:47]
	v_fma_f64 v[250:251], s[36:37], v[20:21], v[248:249]
	v_add_f64 v[124:125], v[4:5], v[124:125]
	v_add_f64 v[62:63], v[104:105], v[62:63]
	v_mul_f64 v[174:175], v[52:53], s[42:43]
	v_fma_f64 v[232:233], s[18:19], v[16:17], v[210:211]
	v_add_f64 v[124:125], v[250:251], v[124:125]
	;; [unrolled: 4-line block ×3, first 2 shown]
	v_fma_f64 v[80:81], v[8:9], s[2:3], -v[80:81]
	v_add_f64 v[62:63], v[94:95], v[62:63]
	v_mul_f64 v[104:105], v[48:49], s[28:29]
	v_fma_f64 v[164:165], s[10:11], v[12:13], v[162:163]
	v_add_f64 v[124:125], v[186:187], v[124:125]
	v_fma_f64 v[64:65], v[6:7], s[22:23], -v[64:65]
	v_add_f64 v[62:63], v[80:81], v[62:63]
	v_mul_f64 v[94:95], v[40:41], s[52:53]
	v_fma_f64 v[128:129], s[30:31], v[10:11], v[104:105]
	v_add_f64 v[124:125], v[164:165], v[124:125]
	v_add_f64 v[62:63], v[64:65], v[62:63]
	v_mul_f64 v[64:65], v[24:25], s[44:45]
	v_fma_f64 v[100:101], s[22:23], v[8:9], v[94:95]
	v_add_f64 v[124:125], v[128:129], v[124:125]
	v_accvgpr_write_b32 a52, v130
	v_fma_f64 v[80:81], s[6:7], v[6:7], v[64:65]
	v_add_f64 v[100:101], v[100:101], v[124:125]
	v_fma_f64 v[30:31], v[22:23], s[12:13], -v[30:31]
	v_accvgpr_write_b32 a53, v131
	v_mul_f64 v[130:131], v[60:61], s[38:39]
	v_add_f64 v[80:81], v[80:81], v[100:101]
	v_fma_f64 v[100:101], v[10:11], s[30:31], -v[104:105]
	v_fma_f64 v[104:105], v[12:13], s[10:11], -v[162:163]
	;; [unrolled: 1-line block ×3, first 2 shown]
	v_add_f64 v[30:31], v[4:5], v[30:31]
	v_mul_f64 v[248:249], v[56:57], s[20:21]
	v_fma_f64 v[32:33], s[10:11], v[22:23], v[130:131]
	v_fma_f64 v[128:129], v[16:17], s[18:19], -v[210:211]
	v_add_f64 v[30:31], v[162:163], v[30:31]
	v_mul_f64 v[210:211], v[54:55], s[54:55]
	v_fma_f64 v[250:251], s[22:23], v[20:21], v[248:249]
	v_add_f64 v[32:33], v[4:5], v[32:33]
	v_fma_f64 v[124:125], v[14:15], s[2:3], -v[174:175]
	v_add_f64 v[30:31], v[128:129], v[30:31]
	v_mul_f64 v[174:175], v[52:53], s[46:47]
	v_fma_f64 v[232:233], s[36:37], v[16:17], v[210:211]
	v_add_f64 v[32:33], v[250:251], v[32:33]
	v_add_f64 v[30:31], v[124:125], v[30:31]
	v_mul_f64 v[162:163], v[50:51], s[44:45]
	v_fma_f64 v[186:187], s[18:19], v[14:15], v[174:175]
	v_add_f64 v[32:33], v[232:233], v[32:33]
	;; [unrolled: 4-line block ×3, first 2 shown]
	v_fma_f64 v[94:95], v[8:9], s[22:23], -v[94:95]
	v_add_f64 v[30:31], v[100:101], v[30:31]
	v_mul_f64 v[100:101], v[40:41], s[26:27]
	v_fma_f64 v[128:129], s[2:3], v[10:11], v[124:125]
	v_add_f64 v[32:33], v[164:165], v[32:33]
	v_accvgpr_write_b32 a36, v172
	v_fma_f64 v[64:65], v[6:7], s[6:7], -v[64:65]
	v_add_f64 v[30:31], v[94:95], v[30:31]
	v_fma_f64 v[104:105], s[12:13], v[8:9], v[100:101]
	v_add_f64 v[32:33], v[128:129], v[32:33]
	v_accvgpr_write_b32 a37, v173
	v_mul_f64 v[172:173], v[60:61], s[24:25]
	v_add_f64 v[30:31], v[64:65], v[30:31]
	v_mul_f64 v[64:65], v[24:25], s[28:29]
	v_add_f64 v[32:33], v[104:105], v[32:33]
	v_fma_f64 v[104:105], v[12:13], s[6:7], -v[162:163]
	v_fma_f64 v[162:163], v[20:21], s[22:23], -v[248:249]
	v_mul_f64 v[248:249], v[56:57], s[26:27]
	v_fma_f64 v[34:35], s[6:7], v[22:23], v[172:173]
	v_fma_f64 v[94:95], s[30:31], v[6:7], v[64:65]
	v_fma_f64 v[128:129], v[16:17], s[36:37], -v[210:211]
	v_fma_f64 v[130:131], v[22:23], s[10:11], -v[130:131]
	v_mul_f64 v[210:211], v[54:55], s[20:21]
	v_fma_f64 v[250:251], s[12:13], v[20:21], v[248:249]
	v_add_f64 v[34:35], v[4:5], v[34:35]
	v_add_f64 v[32:33], v[94:95], v[32:33]
	v_fma_f64 v[94:95], v[8:9], s[12:13], -v[100:101]
	v_fma_f64 v[100:101], v[10:11], s[2:3], -v[124:125]
	;; [unrolled: 1-line block ×3, first 2 shown]
	v_add_f64 v[130:131], v[4:5], v[130:131]
	v_mul_f64 v[174:175], v[52:53], s[34:35]
	v_fma_f64 v[232:233], s[22:23], v[16:17], v[210:211]
	v_add_f64 v[34:35], v[250:251], v[34:35]
	v_add_f64 v[130:131], v[162:163], v[130:131]
	v_mul_f64 v[162:163], v[50:51], s[48:49]
	v_fma_f64 v[186:187], s[36:37], v[14:15], v[174:175]
	v_add_f64 v[34:35], v[232:233], v[34:35]
	v_fma_f64 v[164:165], s[30:31], v[12:13], v[162:163]
	v_add_f64 v[34:35], v[186:187], v[34:35]
	v_mul_f64 v[60:61], v[60:61], s[14:15]
	v_add_f64 v[34:35], v[164:165], v[34:35]
	v_fma_f64 v[164:165], v[22:23], s[6:7], -v[172:173]
	v_fma_f64 v[172:173], s[2:3], v[22:23], v[60:61]
	v_fma_f64 v[22:23], v[22:23], s[2:3], -v[60:61]
	v_add_f64 v[128:129], v[128:129], v[130:131]
	v_add_f64 v[164:165], v[4:5], v[164:165]
	v_add_f64 v[172:173], v[4:5], v[172:173]
	v_add_f64 v[22:23], v[4:5], v[22:23]
	v_add_f64 v[4:5], v[4:5], v[136:137]
	v_add_f64 v[124:125], v[124:125], v[128:129]
	v_add_f64 v[4:5], v[4:5], v[150:151]
	v_add_f64 v[104:105], v[104:105], v[124:125]
	v_mul_f64 v[128:129], v[48:49], s[46:47]
	v_add_f64 v[4:5], v[4:5], v[114:115]
	v_add_f64 v[100:101], v[100:101], v[104:105]
	v_mul_f64 v[104:105], v[40:41], s[40:41]
	v_fma_f64 v[130:131], s[18:19], v[10:11], v[128:129]
	v_add_f64 v[4:5], v[4:5], v[144:145]
	v_fma_f64 v[64:65], v[6:7], s[30:31], -v[64:65]
	v_add_f64 v[94:95], v[94:95], v[100:101]
	v_fma_f64 v[124:125], s[10:11], v[8:9], v[104:105]
	v_add_f64 v[34:35], v[130:131], v[34:35]
	v_add_f64 v[4:5], v[4:5], v[72:73]
	;; [unrolled: 1-line block ×3, first 2 shown]
	v_mul_f64 v[94:95], v[24:25], s[42:43]
	v_add_f64 v[34:35], v[124:125], v[34:35]
	v_fma_f64 v[124:125], v[12:13], s[30:31], -v[162:163]
	v_fma_f64 v[162:163], v[20:21], s[12:13], -v[248:249]
	v_mul_f64 v[56:57], v[56:57], s[24:25]
	v_add_f64 v[4:5], v[4:5], v[190:191]
	v_fma_f64 v[100:101], s[2:3], v[6:7], v[94:95]
	v_fma_f64 v[130:131], v[16:17], s[22:23], -v[210:211]
	v_add_f64 v[162:163], v[162:163], v[164:165]
	v_mul_f64 v[54:55], v[54:55], s[38:39]
	v_fma_f64 v[164:165], s[6:7], v[20:21], v[56:57]
	v_fma_f64 v[20:21], v[20:21], s[6:7], -v[56:57]
	v_add_f64 v[4:5], v[4:5], v[198:199]
	v_add_f64 v[34:35], v[100:101], v[34:35]
	v_fma_f64 v[100:101], v[8:9], s[10:11], -v[104:105]
	v_fma_f64 v[104:105], v[10:11], s[18:19], -v[128:129]
	;; [unrolled: 1-line block ×3, first 2 shown]
	v_add_f64 v[130:131], v[130:131], v[162:163]
	v_mul_f64 v[52:53], v[52:53], s[26:27]
	v_fma_f64 v[162:163], s[10:11], v[16:17], v[54:55]
	v_add_f64 v[164:165], v[164:165], v[172:173]
	v_accvgpr_read_b32 v173, a37
	v_fma_f64 v[16:17], v[16:17], s[10:11], -v[54:55]
	v_add_f64 v[20:21], v[20:21], v[22:23]
	v_add_f64 v[4:5], v[4:5], v[168:169]
	v_accvgpr_read_b32 v175, a41
	v_add_f64 v[128:129], v[128:129], v[130:131]
	v_mul_f64 v[50:51], v[50:51], s[16:17]
	v_fma_f64 v[130:131], s[12:13], v[14:15], v[52:53]
	v_accvgpr_read_b32 v172, a36
	v_add_f64 v[162:163], v[162:163], v[164:165]
	v_fma_f64 v[14:15], v[14:15], s[12:13], -v[52:53]
	v_add_f64 v[16:17], v[16:17], v[20:21]
	v_add_f64 v[4:5], v[4:5], v[194:195]
	v_accvgpr_read_b32 v174, a40
	v_accvgpr_read_b32 v211, a43
	v_add_f64 v[124:125], v[124:125], v[128:129]
	v_mul_f64 v[48:49], v[48:49], s[20:21]
	v_fma_f64 v[128:129], s[18:19], v[12:13], v[50:51]
	v_add_f64 v[130:131], v[130:131], v[162:163]
	v_fma_f64 v[12:13], v[12:13], s[18:19], -v[50:51]
	v_add_f64 v[14:15], v[14:15], v[16:17]
	v_add_f64 v[4:5], v[4:5], v[172:173]
	v_accvgpr_read_b32 v210, a42
	v_add_f64 v[104:105], v[104:105], v[124:125]
	v_mul_f64 v[40:41], v[40:41], s[28:29]
	v_fma_f64 v[124:125], s[22:23], v[10:11], v[48:49]
	v_add_f64 v[128:129], v[128:129], v[130:131]
	v_accvgpr_read_b32 v131, a53
	v_fma_f64 v[10:11], v[10:11], s[22:23], -v[48:49]
	v_add_f64 v[12:13], v[12:13], v[14:15]
	v_add_f64 v[4:5], v[4:5], v[174:175]
	v_fma_f64 v[94:95], v[6:7], s[2:3], -v[94:95]
	v_add_f64 v[100:101], v[100:101], v[104:105]
	v_mul_f64 v[24:25], v[24:25], s[34:35]
	v_fma_f64 v[104:105], s[30:31], v[8:9], v[40:41]
	v_accvgpr_read_b32 v130, a52
	v_add_f64 v[124:125], v[124:125], v[128:129]
	v_fma_f64 v[8:9], v[8:9], s[30:31], -v[40:41]
	v_add_f64 v[10:11], v[10:11], v[12:13]
	v_add_f64 v[4:5], v[4:5], v[210:211]
	;; [unrolled: 1-line block ×3, first 2 shown]
	v_fma_f64 v[100:101], s[36:37], v[6:7], v[24:25]
	v_add_f64 v[104:105], v[104:105], v[124:125]
	v_accvgpr_read_b32 v125, a65
	v_fma_f64 v[6:7], v[6:7], s[36:37], -v[24:25]
	v_add_f64 v[8:9], v[8:9], v[10:11]
	v_add_f64 v[4:5], v[4:5], v[130:131]
	v_accvgpr_read_b32 v124, a64
	v_add_f64 v[6:7], v[6:7], v[8:9]
	v_add_f64 v[4:5], v[4:5], v[140:141]
	v_lshlrev_b32_sdwa v8, v90, v108 dst_sel:DWORD dst_unused:UNUSED_PAD src0_sel:DWORD src1_sel:BYTE_0
	v_mov_b64_e32 v[164:165], v[202:203]
	v_add_f64 v[4:5], v[4:5], v[124:125]
	v_add3_u32 v8, 0, v8, v237
	v_accvgpr_read_b32 v203, a71
	v_accvgpr_read_b32 v137, a69
	;; [unrolled: 1-line block ×7, first 2 shown]
	v_add_f64 v[4:5], v[4:5], v[164:165]
	v_add_u32_e32 v9, 0x800, v8
	v_accvgpr_read_b32 v202, a70
	v_accvgpr_read_b32 v136, a68
	;; [unrolled: 1-line block ×7, first 2 shown]
	ds_write2_b64 v9, v[4:5], v[6:7] offset0:220 offset1:227
	ds_write2_b64 v9, v[94:95], v[64:65] offset0:234 offset1:241
	ds_write2_b64 v9, v[30:31], v[62:63] offset0:248 offset1:255
	v_add_u32_e32 v4, 0x1000, v8
	v_add_f64 v[100:101], v[100:101], v[104:105]
	ds_write2_b64 v4, v[26:27], v[88:89] offset0:6 offset1:13
	ds_write2_b64 v4, v[18:19], v[2:3] offset0:20 offset1:27
	;; [unrolled: 1-line block ×5, first 2 shown]
	ds_write_b64 v8, v[100:101] offset:4704
.LBB0_18:
	s_or_b64 exec, exec, s[56:57]
	v_add_f64 v[2:3], v[118:119], v[188:189]
	v_add_f64 v[2:3], v[2:3], v[200:201]
	;; [unrolled: 1-line block ×13, first 2 shown]
	v_accvgpr_read_b32 v4, a48
	v_add_f64 v[2:3], v[2:3], v[238:239]
	v_accvgpr_read_b32 v5, a49
	v_accvgpr_read_b32 v42, a58
	v_add_f64 v[2:3], v[2:3], v[242:243]
	v_add_f64 v[4:5], v[4:5], -v[244:245]
	v_accvgpr_read_b32 v43, a59
	v_add_f64 v[232:233], v[2:3], v[246:247]
	v_add_f64 v[2:3], v[188:189], v[246:247]
	v_mul_f64 v[6:7], v[4:5], s[14:15]
	v_mul_f64 v[10:11], v[4:5], s[24:25]
	;; [unrolled: 1-line block ×8, first 2 shown]
	v_add_f64 v[42:43], v[42:43], -v[240:241]
	v_fma_f64 v[8:9], s[2:3], v[2:3], v[6:7]
	v_fma_f64 v[6:7], v[2:3], s[2:3], -v[6:7]
	v_fma_f64 v[12:13], s[6:7], v[2:3], v[10:11]
	v_fma_f64 v[10:11], v[2:3], s[6:7], -v[10:11]
	;; [unrolled: 2-line block ×8, first 2 shown]
	v_add_f64 v[4:5], v[200:201], v[242:243]
	v_mul_f64 v[48:49], v[42:43], s[24:25]
	v_add_f64 v[6:7], v[118:119], v[6:7]
	v_fma_f64 v[50:51], s[6:7], v[4:5], v[48:49]
	v_fma_f64 v[48:49], v[4:5], s[6:7], -v[48:49]
	v_add_f64 v[8:9], v[118:119], v[8:9]
	v_add_f64 v[6:7], v[48:49], v[6:7]
	v_mul_f64 v[48:49], v[42:43], s[26:27]
	v_add_f64 v[10:11], v[118:119], v[10:11]
	v_add_f64 v[8:9], v[50:51], v[8:9]
	v_fma_f64 v[50:51], s[12:13], v[4:5], v[48:49]
	v_fma_f64 v[48:49], v[4:5], s[12:13], -v[48:49]
	v_add_f64 v[12:13], v[118:119], v[12:13]
	v_add_f64 v[10:11], v[48:49], v[10:11]
	v_mul_f64 v[48:49], v[42:43], s[20:21]
	v_add_f64 v[14:15], v[118:119], v[14:15]
	;; [unrolled: 7-line block ×6, first 2 shown]
	v_add_f64 v[30:31], v[50:51], v[30:31]
	v_fma_f64 v[50:51], s[10:11], v[4:5], v[48:49]
	v_fma_f64 v[48:49], v[4:5], s[10:11], -v[48:49]
	v_mul_f64 v[42:43], v[42:43], s[42:43]
	v_add_f64 v[32:33], v[48:49], v[32:33]
	v_fma_f64 v[48:49], s[2:3], v[4:5], v[42:43]
	v_fma_f64 v[4:5], v[4:5], s[2:3], -v[42:43]
	v_accvgpr_read_b32 v42, a56
	v_accvgpr_read_b32 v43, a57
	v_add_f64 v[40:41], v[118:119], v[40:41]
	v_add_f64 v[2:3], v[118:119], v[2:3]
	v_add_f64 v[42:43], v[42:43], -v[76:77]
	v_add_f64 v[34:35], v[118:119], v[34:35]
	v_add_f64 v[40:41], v[48:49], v[40:41]
	;; [unrolled: 1-line block ×4, first 2 shown]
	v_mul_f64 v[48:49], v[42:43], s[38:39]
	v_add_f64 v[34:35], v[50:51], v[34:35]
	v_fma_f64 v[50:51], s[10:11], v[4:5], v[48:49]
	v_fma_f64 v[48:49], v[4:5], s[10:11], -v[48:49]
	v_add_f64 v[6:7], v[48:49], v[6:7]
	v_mul_f64 v[48:49], v[42:43], s[20:21]
	v_add_f64 v[8:9], v[50:51], v[8:9]
	v_fma_f64 v[50:51], s[22:23], v[4:5], v[48:49]
	v_fma_f64 v[48:49], v[4:5], s[22:23], -v[48:49]
	v_add_f64 v[10:11], v[48:49], v[10:11]
	;; [unrolled: 5-line block ×6, first 2 shown]
	v_mul_f64 v[48:49], v[42:43], s[26:27]
	v_add_f64 v[30:31], v[50:51], v[30:31]
	v_fma_f64 v[50:51], s[12:13], v[4:5], v[48:49]
	v_fma_f64 v[48:49], v[4:5], s[12:13], -v[48:49]
	v_mul_f64 v[42:43], v[42:43], s[28:29]
	v_add_f64 v[32:33], v[48:49], v[32:33]
	v_fma_f64 v[48:49], s[30:31], v[4:5], v[42:43]
	v_fma_f64 v[4:5], v[4:5], s[30:31], -v[42:43]
	v_accvgpr_read_b32 v42, a54
	v_accvgpr_read_b32 v43, a55
	v_add_f64 v[42:43], v[42:43], -v[226:227]
	v_add_f64 v[40:41], v[48:49], v[40:41]
	v_add_f64 v[2:3], v[4:5], v[2:3]
	;; [unrolled: 1-line block ×3, first 2 shown]
	v_mul_f64 v[48:49], v[42:43], s[26:27]
	v_add_f64 v[34:35], v[50:51], v[34:35]
	v_fma_f64 v[50:51], s[12:13], v[4:5], v[48:49]
	v_fma_f64 v[48:49], v[4:5], s[12:13], -v[48:49]
	v_add_f64 v[6:7], v[48:49], v[6:7]
	v_mul_f64 v[48:49], v[42:43], s[34:35]
	v_add_f64 v[8:9], v[50:51], v[8:9]
	v_fma_f64 v[50:51], s[36:37], v[4:5], v[48:49]
	v_fma_f64 v[48:49], v[4:5], s[36:37], -v[48:49]
	v_add_f64 v[10:11], v[48:49], v[10:11]
	;; [unrolled: 5-line block ×6, first 2 shown]
	v_mul_f64 v[48:49], v[42:43], s[52:53]
	v_add_f64 v[30:31], v[50:51], v[30:31]
	v_fma_f64 v[50:51], s[22:23], v[4:5], v[48:49]
	v_fma_f64 v[48:49], v[4:5], s[22:23], -v[48:49]
	v_mul_f64 v[42:43], v[42:43], s[44:45]
	v_add_f64 v[32:33], v[48:49], v[32:33]
	v_fma_f64 v[48:49], s[6:7], v[4:5], v[42:43]
	v_fma_f64 v[4:5], v[4:5], s[6:7], -v[42:43]
	v_accvgpr_read_b32 v42, a46
	v_accvgpr_read_b32 v43, a47
	v_add_f64 v[42:43], v[42:43], -v[222:223]
	v_add_f64 v[40:41], v[48:49], v[40:41]
	v_add_f64 v[2:3], v[4:5], v[2:3]
	v_add_f64 v[4:5], v[180:181], v[224:225]
	v_mul_f64 v[48:49], v[42:43], s[16:17]
	v_add_f64 v[34:35], v[50:51], v[34:35]
	v_fma_f64 v[50:51], s[18:19], v[4:5], v[48:49]
	v_fma_f64 v[48:49], v[4:5], s[18:19], -v[48:49]
	v_add_f64 v[6:7], v[48:49], v[6:7]
	v_mul_f64 v[48:49], v[42:43], s[48:49]
	v_add_f64 v[8:9], v[50:51], v[8:9]
	v_fma_f64 v[50:51], s[30:31], v[4:5], v[48:49]
	v_fma_f64 v[48:49], v[4:5], s[30:31], -v[48:49]
	v_add_f64 v[10:11], v[48:49], v[10:11]
	v_mul_f64 v[48:49], v[42:43], s[44:45]
	v_add_f64 v[12:13], v[50:51], v[12:13]
	v_fma_f64 v[50:51], s[6:7], v[4:5], v[48:49]
	v_fma_f64 v[48:49], v[4:5], s[6:7], -v[48:49]
	v_add_f64 v[14:15], v[48:49], v[14:15]
	v_mul_f64 v[48:49], v[42:43], s[38:39]
	v_add_f64 v[16:17], v[50:51], v[16:17]
	v_fma_f64 v[50:51], s[10:11], v[4:5], v[48:49]
	v_fma_f64 v[48:49], v[4:5], s[10:11], -v[48:49]
	v_add_f64 v[18:19], v[48:49], v[18:19]
	v_mul_f64 v[48:49], v[42:43], s[34:35]
	v_add_f64 v[20:21], v[50:51], v[20:21]
	v_fma_f64 v[50:51], s[36:37], v[4:5], v[48:49]
	v_fma_f64 v[48:49], v[4:5], s[36:37], -v[48:49]
	v_add_f64 v[22:23], v[48:49], v[22:23]
	v_mul_f64 v[48:49], v[42:43], s[50:51]
	v_add_f64 v[24:25], v[50:51], v[24:25]
	v_fma_f64 v[50:51], s[12:13], v[4:5], v[48:49]
	v_fma_f64 v[48:49], v[4:5], s[12:13], -v[48:49]
	v_add_f64 v[26:27], v[48:49], v[26:27]
	v_mul_f64 v[48:49], v[42:43], s[14:15]
	v_add_f64 v[30:31], v[50:51], v[30:31]
	v_fma_f64 v[50:51], s[2:3], v[4:5], v[48:49]
	v_fma_f64 v[48:49], v[4:5], s[2:3], -v[48:49]
	v_mul_f64 v[42:43], v[42:43], s[20:21]
	v_add_f64 v[32:33], v[48:49], v[32:33]
	v_fma_f64 v[48:49], s[22:23], v[4:5], v[42:43]
	v_fma_f64 v[4:5], v[4:5], s[22:23], -v[42:43]
	v_add_f64 v[42:43], v[254:255], -v[214:215]
	v_add_f64 v[40:41], v[48:49], v[40:41]
	v_add_f64 v[2:3], v[4:5], v[2:3]
	v_add_f64 v[4:5], v[182:183], v[216:217]
	v_mul_f64 v[48:49], v[42:43], s[20:21]
	v_add_f64 v[34:35], v[50:51], v[34:35]
	v_fma_f64 v[50:51], s[22:23], v[4:5], v[48:49]
	v_fma_f64 v[48:49], v[4:5], s[22:23], -v[48:49]
	v_add_f64 v[6:7], v[48:49], v[6:7]
	v_mul_f64 v[48:49], v[42:43], s[46:47]
	v_add_f64 v[8:9], v[50:51], v[8:9]
	v_fma_f64 v[50:51], s[18:19], v[4:5], v[48:49]
	v_fma_f64 v[48:49], v[4:5], s[18:19], -v[48:49]
	v_add_f64 v[10:11], v[48:49], v[10:11]
	v_mul_f64 v[48:49], v[42:43], s[14:15]
	v_add_f64 v[12:13], v[50:51], v[12:13]
	v_fma_f64 v[50:51], s[2:3], v[4:5], v[48:49]
	v_fma_f64 v[48:49], v[4:5], s[2:3], -v[48:49]
	v_add_f64 v[14:15], v[48:49], v[14:15]
	v_mul_f64 v[48:49], v[42:43], s[28:29]
	v_add_f64 v[16:17], v[50:51], v[16:17]
	v_fma_f64 v[50:51], s[30:31], v[4:5], v[48:49]
	v_fma_f64 v[48:49], v[4:5], s[30:31], -v[48:49]
	v_add_f64 v[18:19], v[48:49], v[18:19]
	v_mul_f64 v[48:49], v[42:43], s[50:51]
	v_add_f64 v[20:21], v[50:51], v[20:21]
	v_fma_f64 v[50:51], s[12:13], v[4:5], v[48:49]
	v_fma_f64 v[48:49], v[4:5], s[12:13], -v[48:49]
	v_add_f64 v[22:23], v[48:49], v[22:23]
	v_mul_f64 v[48:49], v[42:43], s[24:25]
	v_add_f64 v[24:25], v[50:51], v[24:25]
	v_fma_f64 v[50:51], s[6:7], v[4:5], v[48:49]
	v_fma_f64 v[48:49], v[4:5], s[6:7], -v[48:49]
	v_add_f64 v[26:27], v[48:49], v[26:27]
	v_mul_f64 v[48:49], v[42:43], s[34:35]
	v_add_f64 v[30:31], v[50:51], v[30:31]
	v_fma_f64 v[50:51], s[36:37], v[4:5], v[48:49]
	v_fma_f64 v[48:49], v[4:5], s[36:37], -v[48:49]
	v_mul_f64 v[42:43], v[42:43], s[40:41]
	v_add_f64 v[32:33], v[48:49], v[32:33]
	v_fma_f64 v[48:49], s[10:11], v[4:5], v[42:43]
	v_fma_f64 v[4:5], v[4:5], s[10:11], -v[42:43]
	;; [unrolled: 42-line block ×3, first 2 shown]
	v_add_f64 v[42:43], v[150:151], -v[140:141]
	v_add_f64 v[40:41], v[48:49], v[40:41]
	v_add_f64 v[2:3], v[4:5], v[2:3]
	;; [unrolled: 1-line block ×3, first 2 shown]
	v_mul_f64 v[48:49], v[42:43], s[34:35]
	v_add_f64 v[34:35], v[50:51], v[34:35]
	v_fma_f64 v[50:51], s[36:37], v[4:5], v[48:49]
	v_add_f64 v[140:141], v[50:51], v[8:9]
	v_fma_f64 v[8:9], v[4:5], s[36:37], -v[48:49]
	v_add_f64 v[118:119], v[8:9], v[6:7]
	v_mul_f64 v[6:7], v[42:43], s[42:43]
	v_fma_f64 v[8:9], s[2:3], v[4:5], v[6:7]
	v_fma_f64 v[6:7], v[4:5], s[2:3], -v[6:7]
	v_add_f64 v[150:151], v[6:7], v[10:11]
	v_mul_f64 v[6:7], v[42:43], s[28:29]
	v_add_f64 v[154:155], v[8:9], v[12:13]
	v_fma_f64 v[8:9], s[30:31], v[4:5], v[6:7]
	v_fma_f64 v[6:7], v[4:5], s[30:31], -v[6:7]
	v_add_f64 v[158:159], v[6:7], v[14:15]
	v_mul_f64 v[6:7], v[42:43], s[44:45]
	v_add_f64 v[162:163], v[8:9], v[16:17]
	;; [unrolled: 5-line block ×6, first 2 shown]
	v_fma_f64 v[8:9], s[12:13], v[4:5], v[6:7]
	v_fma_f64 v[4:5], v[4:5], s[12:13], -v[6:7]
	v_add_f64 v[200:201], v[4:5], v[2:3]
	v_add_f64 v[2:3], v[112:113], v[176:177]
	v_add_f64 v[2:3], v[2:3], v[178:179]
	v_add_f64 v[2:3], v[2:3], v[170:171]
	v_add_f64 v[2:3], v[2:3], v[166:167]
	v_add_f64 v[2:3], v[2:3], v[160:161]
	v_add_f64 v[2:3], v[2:3], v[152:153]
	v_add_f64 v[2:3], v[2:3], v[122:123]
	v_add_f64 v[2:3], v[2:3], v[116:117]
	v_add_f64 v[2:3], v[2:3], v[86:87]
	v_add_f64 v[2:3], v[2:3], v[82:83]
	v_add_f64 v[2:3], v[2:3], v[132:133]
	v_add_f64 v[2:3], v[2:3], v[74:75]
	v_add_f64 v[2:3], v[2:3], v[138:139]
	v_accvgpr_read_b32 v4, a10
	v_add_f64 v[198:199], v[8:9], v[40:41]
	v_add_f64 v[2:3], v[2:3], v[208:209]
	v_accvgpr_read_b32 v5, a11
	v_accvgpr_read_b32 v41, a17
	v_add_f64 v[2:3], v[2:3], v[46:47]
	v_add_f64 v[4:5], v[4:5], -v[92:93]
	v_accvgpr_read_b32 v40, a16
	v_add_f64 v[202:203], v[2:3], v[38:39]
	v_add_f64 v[2:3], v[176:177], v[38:39]
	v_mul_f64 v[6:7], v[4:5], s[14:15]
	v_mul_f64 v[10:11], v[4:5], s[24:25]
	;; [unrolled: 1-line block ×8, first 2 shown]
	v_add_f64 v[40:41], v[40:41], -v[220:221]
	v_fma_f64 v[8:9], s[2:3], v[2:3], v[6:7]
	v_fma_f64 v[6:7], v[2:3], s[2:3], -v[6:7]
	v_fma_f64 v[12:13], s[6:7], v[2:3], v[10:11]
	v_fma_f64 v[10:11], v[2:3], s[6:7], -v[10:11]
	;; [unrolled: 2-line block ×8, first 2 shown]
	v_add_f64 v[4:5], v[178:179], v[46:47]
	v_mul_f64 v[42:43], v[40:41], s[24:25]
	v_add_f64 v[6:7], v[112:113], v[6:7]
	v_fma_f64 v[46:47], s[6:7], v[4:5], v[42:43]
	v_fma_f64 v[42:43], v[4:5], s[6:7], -v[42:43]
	v_add_f64 v[8:9], v[112:113], v[8:9]
	v_add_f64 v[6:7], v[42:43], v[6:7]
	v_mul_f64 v[42:43], v[40:41], s[26:27]
	v_add_f64 v[10:11], v[112:113], v[10:11]
	v_add_f64 v[8:9], v[46:47], v[8:9]
	v_fma_f64 v[46:47], s[12:13], v[4:5], v[42:43]
	v_fma_f64 v[42:43], v[4:5], s[12:13], -v[42:43]
	v_add_f64 v[12:13], v[112:113], v[12:13]
	v_add_f64 v[10:11], v[42:43], v[10:11]
	v_mul_f64 v[42:43], v[40:41], s[20:21]
	v_add_f64 v[14:15], v[112:113], v[14:15]
	;; [unrolled: 7-line block ×6, first 2 shown]
	v_add_f64 v[30:31], v[46:47], v[30:31]
	v_fma_f64 v[46:47], s[10:11], v[4:5], v[42:43]
	v_fma_f64 v[42:43], v[4:5], s[10:11], -v[42:43]
	v_mul_f64 v[40:41], v[40:41], s[42:43]
	v_add_f64 v[32:33], v[42:43], v[32:33]
	v_fma_f64 v[42:43], s[2:3], v[4:5], v[40:41]
	v_fma_f64 v[4:5], v[4:5], s[2:3], -v[40:41]
	v_accvgpr_read_b32 v41, a15
	v_accvgpr_read_b32 v40, a14
	v_add_f64 v[38:39], v[112:113], v[38:39]
	v_add_f64 v[2:3], v[112:113], v[2:3]
	v_add_f64 v[40:41], v[40:41], -v[206:207]
	v_add_f64 v[34:35], v[112:113], v[34:35]
	v_add_f64 v[38:39], v[42:43], v[38:39]
	v_add_f64 v[2:3], v[4:5], v[2:3]
	v_add_f64 v[4:5], v[170:171], v[208:209]
	v_mul_f64 v[42:43], v[40:41], s[38:39]
	v_add_f64 v[34:35], v[46:47], v[34:35]
	v_fma_f64 v[46:47], s[10:11], v[4:5], v[42:43]
	v_fma_f64 v[42:43], v[4:5], s[10:11], -v[42:43]
	v_add_f64 v[6:7], v[42:43], v[6:7]
	v_mul_f64 v[42:43], v[40:41], s[20:21]
	v_add_f64 v[8:9], v[46:47], v[8:9]
	v_fma_f64 v[46:47], s[22:23], v[4:5], v[42:43]
	v_fma_f64 v[42:43], v[4:5], s[22:23], -v[42:43]
	v_add_f64 v[10:11], v[42:43], v[10:11]
	;; [unrolled: 5-line block ×6, first 2 shown]
	v_mul_f64 v[42:43], v[40:41], s[26:27]
	v_add_f64 v[30:31], v[46:47], v[30:31]
	v_fma_f64 v[46:47], s[12:13], v[4:5], v[42:43]
	v_fma_f64 v[42:43], v[4:5], s[12:13], -v[42:43]
	v_mul_f64 v[40:41], v[40:41], s[28:29]
	v_add_f64 v[32:33], v[42:43], v[32:33]
	v_fma_f64 v[42:43], s[30:31], v[4:5], v[40:41]
	v_fma_f64 v[4:5], v[4:5], s[30:31], -v[40:41]
	v_accvgpr_read_b32 v41, a13
	v_accvgpr_read_b32 v40, a12
	v_add_f64 v[40:41], v[40:41], -v[136:137]
	v_add_f64 v[38:39], v[42:43], v[38:39]
	v_add_f64 v[2:3], v[4:5], v[2:3]
	;; [unrolled: 1-line block ×3, first 2 shown]
	v_mul_f64 v[42:43], v[40:41], s[26:27]
	v_add_f64 v[34:35], v[46:47], v[34:35]
	v_fma_f64 v[46:47], s[12:13], v[4:5], v[42:43]
	v_fma_f64 v[42:43], v[4:5], s[12:13], -v[42:43]
	v_add_f64 v[6:7], v[42:43], v[6:7]
	v_mul_f64 v[42:43], v[40:41], s[34:35]
	v_add_f64 v[8:9], v[46:47], v[8:9]
	v_fma_f64 v[46:47], s[36:37], v[4:5], v[42:43]
	v_fma_f64 v[42:43], v[4:5], s[36:37], -v[42:43]
	v_add_f64 v[10:11], v[42:43], v[10:11]
	;; [unrolled: 5-line block ×6, first 2 shown]
	v_mul_f64 v[42:43], v[40:41], s[52:53]
	v_add_f64 v[30:31], v[46:47], v[30:31]
	v_fma_f64 v[46:47], s[22:23], v[4:5], v[42:43]
	v_fma_f64 v[42:43], v[4:5], s[22:23], -v[42:43]
	v_mul_f64 v[40:41], v[40:41], s[44:45]
	v_add_f64 v[32:33], v[42:43], v[32:33]
	v_fma_f64 v[42:43], s[6:7], v[4:5], v[40:41]
	v_fma_f64 v[4:5], v[4:5], s[6:7], -v[40:41]
	v_accvgpr_read_b32 v41, a9
	v_accvgpr_read_b32 v40, a8
	v_add_f64 v[40:41], v[40:41], -v[72:73]
	v_add_f64 v[38:39], v[42:43], v[38:39]
	v_add_f64 v[2:3], v[4:5], v[2:3]
	v_add_f64 v[4:5], v[160:161], v[74:75]
	v_mul_f64 v[42:43], v[40:41], s[16:17]
	v_add_f64 v[34:35], v[46:47], v[34:35]
	v_fma_f64 v[46:47], s[18:19], v[4:5], v[42:43]
	v_fma_f64 v[42:43], v[4:5], s[18:19], -v[42:43]
	v_add_f64 v[6:7], v[42:43], v[6:7]
	v_mul_f64 v[42:43], v[40:41], s[48:49]
	v_add_f64 v[8:9], v[46:47], v[8:9]
	v_fma_f64 v[46:47], s[30:31], v[4:5], v[42:43]
	v_fma_f64 v[42:43], v[4:5], s[30:31], -v[42:43]
	v_add_f64 v[10:11], v[42:43], v[10:11]
	v_mul_f64 v[42:43], v[40:41], s[44:45]
	v_add_f64 v[12:13], v[46:47], v[12:13]
	v_fma_f64 v[46:47], s[6:7], v[4:5], v[42:43]
	v_fma_f64 v[42:43], v[4:5], s[6:7], -v[42:43]
	v_add_f64 v[14:15], v[42:43], v[14:15]
	v_mul_f64 v[42:43], v[40:41], s[38:39]
	v_add_f64 v[16:17], v[46:47], v[16:17]
	v_fma_f64 v[46:47], s[10:11], v[4:5], v[42:43]
	v_fma_f64 v[42:43], v[4:5], s[10:11], -v[42:43]
	v_add_f64 v[18:19], v[42:43], v[18:19]
	v_mul_f64 v[42:43], v[40:41], s[34:35]
	v_add_f64 v[20:21], v[46:47], v[20:21]
	v_fma_f64 v[46:47], s[36:37], v[4:5], v[42:43]
	v_fma_f64 v[42:43], v[4:5], s[36:37], -v[42:43]
	v_add_f64 v[22:23], v[42:43], v[22:23]
	v_mul_f64 v[42:43], v[40:41], s[50:51]
	v_add_f64 v[24:25], v[46:47], v[24:25]
	v_fma_f64 v[46:47], s[12:13], v[4:5], v[42:43]
	v_fma_f64 v[42:43], v[4:5], s[12:13], -v[42:43]
	v_add_f64 v[26:27], v[42:43], v[26:27]
	v_mul_f64 v[42:43], v[40:41], s[14:15]
	v_add_f64 v[30:31], v[46:47], v[30:31]
	v_fma_f64 v[46:47], s[2:3], v[4:5], v[42:43]
	v_fma_f64 v[42:43], v[4:5], s[2:3], -v[42:43]
	v_mul_f64 v[40:41], v[40:41], s[20:21]
	v_add_f64 v[32:33], v[42:43], v[32:33]
	v_fma_f64 v[42:43], s[22:23], v[4:5], v[40:41]
	v_fma_f64 v[4:5], v[4:5], s[22:23], -v[40:41]
	v_add_f64 v[40:41], v[156:157], -v[144:145]
	v_add_f64 v[38:39], v[42:43], v[38:39]
	v_add_f64 v[2:3], v[4:5], v[2:3]
	v_add_f64 v[4:5], v[152:153], v[132:133]
	v_mul_f64 v[42:43], v[40:41], s[20:21]
	v_add_f64 v[34:35], v[46:47], v[34:35]
	v_fma_f64 v[46:47], s[22:23], v[4:5], v[42:43]
	v_fma_f64 v[42:43], v[4:5], s[22:23], -v[42:43]
	v_add_f64 v[6:7], v[42:43], v[6:7]
	v_mul_f64 v[42:43], v[40:41], s[46:47]
	v_add_f64 v[8:9], v[46:47], v[8:9]
	v_fma_f64 v[46:47], s[18:19], v[4:5], v[42:43]
	v_fma_f64 v[42:43], v[4:5], s[18:19], -v[42:43]
	v_add_f64 v[10:11], v[42:43], v[10:11]
	v_mul_f64 v[42:43], v[40:41], s[14:15]
	v_add_f64 v[12:13], v[46:47], v[12:13]
	v_fma_f64 v[46:47], s[2:3], v[4:5], v[42:43]
	v_fma_f64 v[42:43], v[4:5], s[2:3], -v[42:43]
	v_add_f64 v[14:15], v[42:43], v[14:15]
	v_mul_f64 v[42:43], v[40:41], s[28:29]
	v_add_f64 v[16:17], v[46:47], v[16:17]
	v_fma_f64 v[46:47], s[30:31], v[4:5], v[42:43]
	v_fma_f64 v[42:43], v[4:5], s[30:31], -v[42:43]
	v_add_f64 v[18:19], v[42:43], v[18:19]
	v_mul_f64 v[42:43], v[40:41], s[50:51]
	v_add_f64 v[20:21], v[46:47], v[20:21]
	v_fma_f64 v[46:47], s[12:13], v[4:5], v[42:43]
	v_fma_f64 v[42:43], v[4:5], s[12:13], -v[42:43]
	v_add_f64 v[22:23], v[42:43], v[22:23]
	v_mul_f64 v[42:43], v[40:41], s[24:25]
	v_add_f64 v[24:25], v[46:47], v[24:25]
	v_fma_f64 v[46:47], s[6:7], v[4:5], v[42:43]
	v_fma_f64 v[42:43], v[4:5], s[6:7], -v[42:43]
	v_add_f64 v[26:27], v[42:43], v[26:27]
	v_mul_f64 v[42:43], v[40:41], s[34:35]
	v_add_f64 v[30:31], v[46:47], v[30:31]
	v_fma_f64 v[46:47], s[36:37], v[4:5], v[42:43]
	v_fma_f64 v[42:43], v[4:5], s[36:37], -v[42:43]
	v_mul_f64 v[40:41], v[40:41], s[40:41]
	v_add_f64 v[32:33], v[42:43], v[32:33]
	v_fma_f64 v[42:43], s[10:11], v[4:5], v[40:41]
	v_fma_f64 v[4:5], v[4:5], s[10:11], -v[40:41]
	;; [unrolled: 42-line block ×3, first 2 shown]
	v_add_f64 v[40:41], v[120:121], -v[84:85]
	v_add_f64 v[38:39], v[42:43], v[38:39]
	v_add_f64 v[2:3], v[4:5], v[2:3]
	;; [unrolled: 1-line block ×3, first 2 shown]
	v_mul_f64 v[42:43], v[40:41], s[34:35]
	v_add_f64 v[34:35], v[46:47], v[34:35]
	v_fma_f64 v[46:47], s[36:37], v[4:5], v[42:43]
	v_add_f64 v[62:63], v[46:47], v[8:9]
	v_fma_f64 v[8:9], v[4:5], s[36:37], -v[42:43]
	v_add_f64 v[42:43], v[8:9], v[6:7]
	v_mul_f64 v[6:7], v[40:41], s[42:43]
	v_fma_f64 v[8:9], s[2:3], v[4:5], v[6:7]
	v_fma_f64 v[6:7], v[4:5], s[2:3], -v[6:7]
	v_add_f64 v[66:67], v[6:7], v[10:11]
	v_mul_f64 v[6:7], v[40:41], s[28:29]
	v_add_f64 v[64:65], v[8:9], v[12:13]
	v_fma_f64 v[8:9], s[30:31], v[4:5], v[6:7]
	v_fma_f64 v[6:7], v[4:5], s[30:31], -v[6:7]
	v_add_f64 v[80:81], v[6:7], v[14:15]
	v_mul_f64 v[6:7], v[40:41], s[44:45]
	v_add_f64 v[76:77], v[8:9], v[16:17]
	;; [unrolled: 5-line block ×5, first 2 shown]
	v_fma_f64 v[8:9], s[18:19], v[4:5], v[6:7]
	v_fma_f64 v[6:7], v[4:5], s[18:19], -v[6:7]
	v_add_f64 v[32:33], v[6:7], v[32:33]
	v_mul_f64 v[6:7], v[40:41], s[50:51]
	v_accvgpr_read_b32 v129, a3
	v_add_f64 v[34:35], v[8:9], v[34:35]
	v_fma_f64 v[8:9], s[12:13], v[4:5], v[6:7]
	v_accvgpr_read_b32 v178, a7
	v_lshlrev_b32_e32 v50, 3, v129
	v_accvgpr_read_b32 v153, a4
	v_add_f64 v[114:115], v[8:9], v[38:39]
	v_fma_f64 v[4:5], v[4:5], s[12:13], -v[6:7]
	v_add_u32_e32 v54, 0x800, v253
	v_add_u32_e32 v18, 0x400, v253
	v_lshlrev_b32_e32 v38, 3, v178
	v_add3_u32 v137, 0, v50, v237
	v_accvgpr_read_b32 v50, a5
	v_lshlrev_b32_e32 v55, 3, v153
	v_add_f64 v[116:117], v[4:5], v[2:3]
	s_waitcnt lgkmcnt(0)
	; wave barrier
	s_waitcnt lgkmcnt(0)
	ds_read2_b64 v[10:13], v253 offset0:119 offset1:136
	ds_read2_b64 v[2:5], v253 offset0:221 offset1:238
	;; [unrolled: 1-line block ×6, first 2 shown]
	v_add3_u32 v136, 0, v38, v237
	ds_read2_b64 v[46:49], v253 offset0:153 offset1:170
	ds_read2_b64 v[38:41], v54 offset0:135 offset1:152
	ds_read_b64 v[142:143], v50
	v_accvgpr_read_b32 v50, a6
	v_add_u32_e32 v58, 0x1000, v253
	v_add3_u32 v128, 0, v55, v237
	ds_read_b64 v[144:145], v50
	ds_read_b64 v[146:147], v136
	;; [unrolled: 1-line block ×3, first 2 shown]
	ds_read2_b64 v[50:53], v54 offset0:33 offset1:50
	ds_read2_b64 v[72:75], v58 offset0:15 offset1:32
	ds_read_b64 v[122:123], v128
	ds_read2_b64 v[86:89], v253 offset0:187 offset1:204
	ds_read2_b64 v[82:85], v54 offset0:169 offset1:186
	;; [unrolled: 1-line block ×5, first 2 shown]
	s_waitcnt lgkmcnt(0)
	; wave barrier
	s_waitcnt lgkmcnt(0)
	ds_write2_b64 v109, v[232:233], v[140:141] offset1:7
	ds_write2_b64 v109, v[154:155], v[162:163] offset0:14 offset1:21
	ds_write2_b64 v109, v[182:183], v[188:189] offset0:28 offset1:35
	;; [unrolled: 1-line block ×7, first 2 shown]
	ds_write_b64 v109, v[118:119] offset:896
	ds_write2_b64 v234, v[202:203], v[62:63] offset1:7
	ds_write2_b64 v234, v[64:65], v[76:77] offset0:14 offset1:21
	ds_write2_b64 v234, v[94:95], v[104:105] offset0:28 offset1:35
	;; [unrolled: 1-line block ×7, first 2 shown]
	ds_write_b64 v234, v[42:43] offset:896
	s_and_saveexec_b64 s[2:3], s[0:1]
	s_cbranch_execz .LBB0_20
; %bb.19:
	v_add_f64 v[26:27], v[0:1], v[212:213]
	v_add_f64 v[26:27], v[26:27], v[102:103]
	;; [unrolled: 1-line block ×13, first 2 shown]
	v_accvgpr_read_b32 v30, a66
	v_add_f64 v[26:27], v[26:27], v[134:135]
	v_accvgpr_read_b32 v31, a67
	s_mov_b32 s40, 0x7c9e640b
	v_add_f64 v[26:27], v[26:27], v[184:185]
	v_add_f64 v[30:31], v[30:31], -v[164:165]
	s_mov_b32 s0, 0x370991
	s_mov_b32 s41, 0xbfeca52d
	v_add_f64 v[80:81], v[26:27], v[218:219]
	v_add_f64 v[26:27], v[212:213], v[218:219]
	v_mul_f64 v[32:33], v[30:31], s[14:15]
	s_mov_b32 s1, 0x3fedd6d0
	v_mul_f64 v[42:43], v[30:31], s[24:25]
	v_mul_f64 v[64:65], v[30:31], s[40:41]
	;; [unrolled: 1-line block ×7, first 2 shown]
	v_fma_f64 v[34:35], s[0:1], v[26:27], v[32:33]
	v_fma_f64 v[32:33], v[26:27], s[0:1], -v[32:33]
	v_fma_f64 v[62:63], s[6:7], v[26:27], v[42:43]
	v_fma_f64 v[42:43], v[26:27], s[6:7], -v[42:43]
	v_fma_f64 v[66:67], s[10:11], v[26:27], v[64:65]
	v_fma_f64 v[64:65], v[26:27], s[10:11], -v[64:65]
	v_fma_f64 v[94:95], s[12:13], v[26:27], v[76:77]
	v_fma_f64 v[76:77], v[26:27], s[12:13], -v[76:77]
	v_fma_f64 v[104:105], s[18:19], v[26:27], v[100:101]
	v_fma_f64 v[100:101], v[26:27], s[18:19], -v[100:101]
	v_fma_f64 v[114:115], s[22:23], v[26:27], v[112:113]
	v_fma_f64 v[112:113], v[26:27], s[22:23], -v[112:113]
	v_fma_f64 v[118:119], s[30:31], v[26:27], v[116:117]
	v_fma_f64 v[116:117], v[26:27], s[30:31], -v[116:117]
	v_fma_f64 v[120:121], s[36:37], v[26:27], v[30:31]
	v_fma_f64 v[26:27], v[26:27], s[36:37], -v[30:31]
	v_accvgpr_read_b32 v30, a34
	v_accvgpr_read_b32 v31, a35
	v_add_f64 v[30:31], v[30:31], -v[124:125]
	v_add_f64 v[34:35], v[0:1], v[34:35]
	v_add_f64 v[32:33], v[0:1], v[32:33]
	v_add_f64 v[62:63], v[0:1], v[62:63]
	v_add_f64 v[42:43], v[0:1], v[42:43]
	v_add_f64 v[66:67], v[0:1], v[66:67]
	v_add_f64 v[64:65], v[0:1], v[64:65]
	v_add_f64 v[94:95], v[0:1], v[94:95]
	v_add_f64 v[76:77], v[0:1], v[76:77]
	v_add_f64 v[104:105], v[0:1], v[104:105]
	v_add_f64 v[100:101], v[0:1], v[100:101]
	v_add_f64 v[114:115], v[0:1], v[114:115]
	v_add_f64 v[112:113], v[0:1], v[112:113]
	v_add_f64 v[118:119], v[0:1], v[118:119]
	v_add_f64 v[116:117], v[0:1], v[116:117]
	v_add_f64 v[120:121], v[0:1], v[120:121]
	v_add_f64 v[0:1], v[0:1], v[26:27]
	v_add_f64 v[26:27], v[102:103], v[184:185]
	v_mul_f64 v[102:103], v[30:31], s[24:25]
	v_fma_f64 v[124:125], s[6:7], v[26:27], v[102:103]
	v_fma_f64 v[102:103], v[26:27], s[6:7], -v[102:103]
	v_add_f64 v[32:33], v[102:103], v[32:33]
	v_mul_f64 v[102:103], v[30:31], s[26:27]
	v_add_f64 v[34:35], v[124:125], v[34:35]
	v_fma_f64 v[124:125], s[12:13], v[26:27], v[102:103]
	v_fma_f64 v[102:103], v[26:27], s[12:13], -v[102:103]
	v_add_f64 v[42:43], v[102:103], v[42:43]
	v_mul_f64 v[102:103], v[30:31], s[20:21]
	v_add_f64 v[62:63], v[124:125], v[62:63]
	;; [unrolled: 5-line block ×3, first 2 shown]
	v_fma_f64 v[124:125], s[36:37], v[26:27], v[102:103]
	v_fma_f64 v[102:103], v[26:27], s[36:37], -v[102:103]
	s_mov_b32 s48, s28
	v_add_f64 v[76:77], v[102:103], v[76:77]
	v_mul_f64 v[102:103], v[30:31], s[48:49]
	v_add_f64 v[94:95], v[124:125], v[94:95]
	v_fma_f64 v[124:125], s[30:31], v[26:27], v[102:103]
	v_fma_f64 v[102:103], v[26:27], s[30:31], -v[102:103]
	s_mov_b32 s46, s16
	v_add_f64 v[100:101], v[102:103], v[100:101]
	v_mul_f64 v[102:103], v[30:31], s[46:47]
	v_add_f64 v[104:105], v[124:125], v[104:105]
	v_fma_f64 v[124:125], s[18:19], v[26:27], v[102:103]
	v_fma_f64 v[102:103], v[26:27], s[18:19], -v[102:103]
	s_mov_b32 s39, 0x3feca52d
	s_mov_b32 s38, s40
	v_add_f64 v[102:103], v[102:103], v[112:113]
	v_mul_f64 v[112:113], v[30:31], s[38:39]
	s_mov_b32 s42, s14
	v_add_f64 v[114:115], v[124:125], v[114:115]
	v_fma_f64 v[124:125], s[10:11], v[26:27], v[112:113]
	v_fma_f64 v[112:113], v[26:27], s[10:11], -v[112:113]
	v_mul_f64 v[30:31], v[30:31], s[42:43]
	v_add_f64 v[112:113], v[112:113], v[116:117]
	v_fma_f64 v[116:117], s[0:1], v[26:27], v[30:31]
	v_fma_f64 v[26:27], v[26:27], s[0:1], -v[30:31]
	v_add_f64 v[0:1], v[26:27], v[0:1]
	v_add_f64 v[26:27], v[70:71], v[134:135]
	v_accvgpr_read_b32 v31, a27
	v_accvgpr_read_b32 v71, a61
	;; [unrolled: 1-line block ×4, first 2 shown]
	v_add_f64 v[30:31], v[30:31], -v[70:71]
	v_mul_f64 v[70:71], v[30:31], s[40:41]
	v_add_f64 v[116:117], v[116:117], v[120:121]
	v_fma_f64 v[120:121], s[10:11], v[26:27], v[70:71]
	v_fma_f64 v[70:71], v[26:27], s[10:11], -v[70:71]
	v_add_f64 v[32:33], v[70:71], v[32:33]
	v_mul_f64 v[70:71], v[30:31], s[20:21]
	v_add_f64 v[34:35], v[120:121], v[34:35]
	v_fma_f64 v[120:121], s[22:23], v[26:27], v[70:71]
	v_fma_f64 v[70:71], v[26:27], s[22:23], -v[70:71]
	s_mov_b32 s45, 0x3fc7851a
	s_mov_b32 s44, s34
	v_add_f64 v[42:43], v[70:71], v[42:43]
	v_mul_f64 v[70:71], v[30:31], s[44:45]
	v_add_f64 v[62:63], v[120:121], v[62:63]
	v_fma_f64 v[120:121], s[36:37], v[26:27], v[70:71]
	v_fma_f64 v[70:71], v[26:27], s[36:37], -v[70:71]
	v_add_f64 v[64:65], v[70:71], v[64:65]
	v_mul_f64 v[70:71], v[30:31], s[46:47]
	v_add_f64 v[66:67], v[120:121], v[66:67]
	v_fma_f64 v[120:121], s[18:19], v[26:27], v[70:71]
	v_fma_f64 v[70:71], v[26:27], s[18:19], -v[70:71]
	s_mov_b32 s45, 0x3fe58eea
	s_mov_b32 s44, s24
	v_add_f64 v[70:71], v[70:71], v[76:77]
	v_mul_f64 v[76:77], v[30:31], s[44:45]
	v_add_f64 v[94:95], v[120:121], v[94:95]
	v_fma_f64 v[120:121], s[6:7], v[26:27], v[76:77]
	v_fma_f64 v[76:77], v[26:27], s[6:7], -v[76:77]
	v_add_f64 v[76:77], v[76:77], v[100:101]
	v_mul_f64 v[100:101], v[30:31], s[14:15]
	v_add_f64 v[104:105], v[120:121], v[104:105]
	v_fma_f64 v[120:121], s[0:1], v[26:27], v[100:101]
	v_fma_f64 v[100:101], v[26:27], s[0:1], -v[100:101]
	;; [unrolled: 5-line block ×3, first 2 shown]
	v_mul_f64 v[30:31], v[30:31], s[28:29]
	v_add_f64 v[102:103], v[102:103], v[112:113]
	v_fma_f64 v[112:113], s[30:31], v[26:27], v[30:31]
	v_fma_f64 v[26:27], v[26:27], s[30:31], -v[30:31]
	v_accvgpr_read_b32 v30, a32
	v_accvgpr_read_b32 v31, a33
	v_add_f64 v[30:31], v[30:31], -v[130:131]
	v_add_f64 v[0:1], v[26:27], v[0:1]
	v_add_f64 v[26:27], v[96:97], v[126:127]
	v_mul_f64 v[96:97], v[30:31], s[26:27]
	v_add_f64 v[112:113], v[112:113], v[116:117]
	v_fma_f64 v[116:117], s[12:13], v[26:27], v[96:97]
	v_fma_f64 v[96:97], v[26:27], s[12:13], -v[96:97]
	v_add_f64 v[32:33], v[96:97], v[32:33]
	v_mul_f64 v[96:97], v[30:31], s[34:35]
	v_add_f64 v[34:35], v[116:117], v[34:35]
	v_fma_f64 v[116:117], s[36:37], v[26:27], v[96:97]
	v_fma_f64 v[96:97], v[26:27], s[36:37], -v[96:97]
	;; [unrolled: 5-line block ×6, first 2 shown]
	s_mov_b32 s51, 0x3fe9895b
	s_mov_b32 s50, s20
	v_add_f64 v[96:97], v[96:97], v[100:101]
	v_mul_f64 v[100:101], v[30:31], s[50:51]
	v_add_f64 v[114:115], v[116:117], v[114:115]
	v_fma_f64 v[116:117], s[22:23], v[26:27], v[100:101]
	v_fma_f64 v[100:101], v[26:27], s[22:23], -v[100:101]
	v_mul_f64 v[30:31], v[30:31], s[44:45]
	v_add_f64 v[100:101], v[100:101], v[102:103]
	v_fma_f64 v[102:103], s[6:7], v[26:27], v[30:31]
	v_fma_f64 v[26:27], v[26:27], s[6:7], -v[30:31]
	v_accvgpr_read_b32 v31, a29
	v_accvgpr_read_b32 v30, a28
	v_add_f64 v[30:31], v[30:31], -v[210:211]
	v_add_f64 v[0:1], v[26:27], v[0:1]
	v_add_f64 v[26:27], v[78:79], v[110:111]
	v_mul_f64 v[78:79], v[30:31], s[16:17]
	v_fma_f64 v[110:111], s[18:19], v[26:27], v[78:79]
	v_fma_f64 v[78:79], v[26:27], s[18:19], -v[78:79]
	v_add_f64 v[32:33], v[78:79], v[32:33]
	v_mul_f64 v[78:79], v[30:31], s[48:49]
	v_add_f64 v[34:35], v[110:111], v[34:35]
	v_fma_f64 v[110:111], s[30:31], v[26:27], v[78:79]
	v_fma_f64 v[78:79], v[26:27], s[30:31], -v[78:79]
	v_add_f64 v[42:43], v[78:79], v[42:43]
	v_mul_f64 v[78:79], v[30:31], s[44:45]
	v_add_f64 v[62:63], v[110:111], v[62:63]
	;; [unrolled: 5-line block ×4, first 2 shown]
	v_fma_f64 v[110:111], s[36:37], v[26:27], v[78:79]
	v_fma_f64 v[78:79], v[26:27], s[36:37], -v[78:79]
	s_mov_b32 s41, 0x3fefdd0d
	s_mov_b32 s40, s26
	v_add_f64 v[76:77], v[78:79], v[76:77]
	v_mul_f64 v[78:79], v[30:31], s[40:41]
	v_add_f64 v[104:105], v[110:111], v[104:105]
	v_fma_f64 v[110:111], s[12:13], v[26:27], v[78:79]
	v_fma_f64 v[78:79], v[26:27], s[12:13], -v[78:79]
	v_add_f64 v[78:79], v[78:79], v[96:97]
	v_mul_f64 v[96:97], v[30:31], s[14:15]
	v_add_f64 v[102:103], v[102:103], v[112:113]
	v_fma_f64 v[112:113], s[0:1], v[26:27], v[96:97]
	v_fma_f64 v[96:97], v[26:27], s[0:1], -v[96:97]
	v_mul_f64 v[30:31], v[30:31], s[20:21]
	v_add_f64 v[96:97], v[96:97], v[100:101]
	v_fma_f64 v[100:101], s[22:23], v[26:27], v[30:31]
	v_fma_f64 v[26:27], v[26:27], s[22:23], -v[30:31]
	v_accvgpr_read_b32 v31, a21
	v_accvgpr_read_b32 v30, a20
	v_add_f64 v[30:31], v[30:31], -v[174:175]
	v_add_f64 v[0:1], v[26:27], v[0:1]
	v_add_f64 v[26:27], v[36:37], v[106:107]
	v_mul_f64 v[36:37], v[30:31], s[20:21]
	v_add_f64 v[100:101], v[100:101], v[102:103]
	v_fma_f64 v[102:103], s[22:23], v[26:27], v[36:37]
	v_fma_f64 v[36:37], v[26:27], s[22:23], -v[36:37]
	v_add_f64 v[32:33], v[36:37], v[32:33]
	v_mul_f64 v[36:37], v[30:31], s[46:47]
	v_add_f64 v[34:35], v[102:103], v[34:35]
	v_fma_f64 v[102:103], s[18:19], v[26:27], v[36:37]
	v_fma_f64 v[36:37], v[26:27], s[18:19], -v[36:37]
	;; [unrolled: 5-line block ×6, first 2 shown]
	v_add_f64 v[76:77], v[76:77], v[78:79]
	v_mul_f64 v[78:79], v[30:31], s[34:35]
	v_fma_f64 v[106:107], s[36:37], v[26:27], v[78:79]
	v_fma_f64 v[78:79], v[26:27], s[36:37], -v[78:79]
	v_mul_f64 v[30:31], v[30:31], s[38:39]
	v_add_f64 v[78:79], v[78:79], v[96:97]
	v_fma_f64 v[96:97], s[10:11], v[26:27], v[30:31]
	v_fma_f64 v[26:27], v[26:27], s[10:11], -v[30:31]
	v_accvgpr_read_b32 v31, a25
	v_accvgpr_read_b32 v30, a24
	v_add_f64 v[30:31], v[30:31], -v[172:173]
	v_add_f64 v[0:1], v[26:27], v[0:1]
	v_add_f64 v[26:27], v[68:69], v[98:99]
	v_mul_f64 v[68:69], v[30:31], s[28:29]
	v_fma_f64 v[98:99], s[30:31], v[26:27], v[68:69]
	v_fma_f64 v[68:69], v[26:27], s[30:31], -v[68:69]
	v_add_f64 v[32:33], v[68:69], v[32:33]
	v_mul_f64 v[68:69], v[30:31], s[38:39]
	v_add_f64 v[34:35], v[98:99], v[34:35]
	v_fma_f64 v[98:99], s[10:11], v[26:27], v[68:69]
	v_fma_f64 v[68:69], v[26:27], s[10:11], -v[68:69]
	v_add_f64 v[36:37], v[68:69], v[36:37]
	v_mul_f64 v[68:69], v[30:31], s[26:27]
	v_add_f64 v[62:63], v[98:99], v[62:63]
	;; [unrolled: 5-line block ×6, first 2 shown]
	v_fma_f64 v[102:103], s[6:7], v[26:27], v[76:77]
	v_fma_f64 v[76:77], v[26:27], s[6:7], -v[76:77]
	v_mul_f64 v[30:31], v[30:31], s[16:17]
	v_add_f64 v[76:77], v[76:77], v[78:79]
	v_fma_f64 v[78:79], s[18:19], v[26:27], v[30:31]
	v_fma_f64 v[26:27], v[26:27], s[18:19], -v[30:31]
	v_add_f64 v[0:1], v[26:27], v[0:1]
	v_add_f64 v[26:27], v[28:29], v[44:45]
	v_accvgpr_read_b32 v29, a19
	v_accvgpr_read_b32 v31, a23
	;; [unrolled: 1-line block ×4, first 2 shown]
	v_add_f64 v[28:29], v[28:29], -v[30:31]
	v_mul_f64 v[30:31], v[28:29], s[34:35]
	v_fma_f64 v[44:45], s[36:37], v[26:27], v[30:31]
	v_fma_f64 v[30:31], v[26:27], s[36:37], -v[30:31]
	v_add_f64 v[30:31], v[30:31], v[32:33]
	v_mul_f64 v[32:33], v[28:29], s[42:43]
	v_add_f64 v[34:35], v[44:45], v[34:35]
	v_fma_f64 v[44:45], s[0:1], v[26:27], v[32:33]
	v_fma_f64 v[32:33], v[26:27], s[0:1], -v[32:33]
	v_add_f64 v[32:33], v[32:33], v[36:37]
	v_mul_f64 v[36:37], v[28:29], s[28:29]
	v_add_f64 v[44:45], v[44:45], v[62:63]
	;; [unrolled: 5-line block ×6, first 2 shown]
	v_add_f64 v[94:95], v[94:95], v[98:99]
	v_fma_f64 v[98:99], s[18:19], v[26:27], v[70:71]
	v_fma_f64 v[70:71], v[26:27], s[18:19], -v[70:71]
	v_mul_f64 v[28:29], v[28:29], s[40:41]
	v_add_f64 v[118:119], v[120:121], v[118:119]
	v_add_f64 v[70:71], v[70:71], v[76:77]
	v_fma_f64 v[76:77], s[12:13], v[26:27], v[28:29]
	v_fma_f64 v[26:27], v[26:27], s[12:13], -v[28:29]
	v_add_f64 v[116:117], v[116:117], v[118:119]
	v_add_f64 v[0:1], v[26:27], v[0:1]
	v_mov_b32_e32 v26, 3
	v_add_f64 v[110:111], v[110:111], v[114:115]
	v_add_f64 v[112:113], v[112:113], v[116:117]
	v_lshlrev_b32_sdwa v26, v26, v108 dst_sel:DWORD dst_unused:UNUSED_PAD src0_sel:DWORD src1_sel:BYTE_0
	v_add_f64 v[104:105], v[104:105], v[110:111]
	v_add_f64 v[106:107], v[106:107], v[112:113]
	v_add3_u32 v26, 0, v26, v237
	v_add_f64 v[100:101], v[100:101], v[104:105]
	v_add_f64 v[102:103], v[102:103], v[106:107]
	v_add_u32_e32 v27, 0x800, v26
	v_add_f64 v[96:97], v[96:97], v[100:101]
	v_add_f64 v[98:99], v[98:99], v[102:103]
	ds_write2_b64 v27, v[80:81], v[34:35] offset0:220 offset1:227
	ds_write2_b64 v27, v[44:45], v[62:63] offset0:234 offset1:241
	;; [unrolled: 1-line block ×3, first 2 shown]
	v_add_u32_e32 v27, 0x1000, v26
	v_add_f64 v[76:77], v[76:77], v[78:79]
	ds_write2_b64 v27, v[96:97], v[98:99] offset0:6 offset1:13
	ds_write2_b64 v27, v[76:77], v[0:1] offset0:20 offset1:27
	;; [unrolled: 1-line block ×5, first 2 shown]
	ds_write_b64 v26, v[30:31] offset:4704
.LBB0_20:
	s_or_b64 exec, exec, s[2:3]
	s_waitcnt lgkmcnt(0)
	; wave barrier
	s_waitcnt lgkmcnt(0)
	s_and_saveexec_b64 s[0:1], vcc
	s_cbranch_execz .LBB0_22
; %bb.21:
	v_add_u32_e32 v150, 0x66, v252
	v_lshlrev_b32_e32 v148, 2, v150
	v_mov_b32_e32 v149, 0
	v_lshl_add_u64 v[0:1], v[148:149], 4, s[4:5]
	global_load_dwordx4 v[26:29], v[0:1], off offset:1808
	global_load_dwordx4 v[30:33], v[0:1], off offset:1792
	;; [unrolled: 1-line block ×4, first 2 shown]
	v_add_u32_e32 v151, 0x55, v252
	v_lshlrev_b32_e32 v148, 2, v151
	v_add_u32_e32 v152, 0x800, v253
	v_lshl_add_u64 v[0:1], v[148:149], 4, s[4:5]
	ds_read2_b64 v[64:67], v253 offset0:221 offset1:238
	v_add_u32_e32 v110, 0x1000, v253
	ds_read2_b64 v[68:71], v253 offset0:85 offset1:102
	ds_read2_b64 v[94:97], v152 offset0:67 offset1:84
	global_load_dwordx4 v[98:101], v[0:1], off offset:1808
	ds_read2_b64 v[78:81], v152 offset0:203 offset1:220
	ds_read2_b64 v[106:109], v110 offset0:49 offset1:66
	global_load_dwordx4 v[124:127], v[0:1], off offset:1840
	global_load_dwordx4 v[102:105], v[0:1], off offset:1824
	;; [unrolled: 1-line block ×3, first 2 shown]
	s_mov_b32 s2, 0x134454ff
	s_mov_b32 s3, 0xbfee6f0e
	s_mov_b32 s0, 0x4755a5e
	s_mov_b32 s11, 0x3fee6f0e
	s_mov_b32 s10, s2
	s_mov_b32 s1, 0x3fe2cf23
	s_mov_b32 s6, 0x372fe950
	s_mov_b32 s13, 0xbfe2cf23
	s_mov_b32 s12, s0
	s_mov_b32 s7, 0x3fd3c6ef
	v_lshlrev_b32_e32 v148, 2, v153
	ds_read2_b64 v[154:157], v253 offset0:187 offset1:204
	s_waitcnt vmcnt(7)
	v_mul_f64 v[0:1], v[56:57], v[28:29]
	s_waitcnt vmcnt(6)
	v_mul_f64 v[62:63], v[2:3], v[32:33]
	;; [unrolled: 2-line block ×4, first 2 shown]
	s_waitcnt lgkmcnt(5)
	v_mul_f64 v[32:33], v[64:65], v[32:33]
	s_waitcnt lgkmcnt(1)
	v_mul_f64 v[44:45], v[108:109], v[44:45]
	v_mul_f64 v[36:37], v[78:79], v[36:37]
	v_fmac_f64_e32 v[0:1], v[96:97], v[26:27]
	v_fmac_f64_e32 v[62:63], v[64:65], v[30:31]
	;; [unrolled: 1-line block ×4, first 2 shown]
	v_fma_f64 v[64:65], v[2:3], v[30:31], -v[32:33]
	v_fma_f64 v[42:43], v[60:61], v[42:43], -v[44:45]
	v_mul_f64 v[28:29], v[96:97], v[28:29]
	v_fma_f64 v[14:15], v[14:15], v[34:35], -v[36:37]
	v_add_f64 v[30:31], v[62:63], -v[0:1]
	v_add_f64 v[36:37], v[112:113], -v[76:77]
	v_add_f64 v[60:61], v[0:1], v[76:77]
	v_add_f64 v[78:79], v[62:63], v[70:71]
	;; [unrolled: 1-line block ×3, first 2 shown]
	v_fma_f64 v[56:57], v[56:57], v[26:27], -v[28:29]
	v_add_f64 v[2:3], v[0:1], -v[62:63]
	v_add_f64 v[26:27], v[76:77], -v[112:113]
	;; [unrolled: 1-line block ×3, first 2 shown]
	v_add_f64 v[28:29], v[62:63], v[112:113]
	v_add_f64 v[114:115], v[0:1], -v[76:77]
	v_add_f64 v[130:131], v[30:31], v[36:37]
	v_fma_f64 v[36:37], -0.5, v[60:61], v[70:71]
	v_add_f64 v[0:1], v[0:1], v[78:79]
	v_fma_f64 v[30:31], -0.5, v[116:117], v[92:93]
	v_add_f64 v[44:45], v[56:57], -v[14:15]
	v_add_f64 v[96:97], v[56:57], -v[64:65]
	;; [unrolled: 1-line block ×4, first 2 shown]
	v_add_f64 v[120:121], v[2:3], v[26:27]
	v_fma_f64 v[32:33], -0.5, v[28:29], v[70:71]
	v_fma_f64 v[2:3], s[10:11], v[34:35], v[36:37]
	v_fmac_f64_e32 v[36:37], s[2:3], v[34:35]
	v_add_f64 v[0:1], v[76:77], v[0:1]
	v_fma_f64 v[26:27], s[10:11], v[114:115], v[30:31]
	v_fmac_f64_e32 v[30:31], s[2:3], v[114:115]
	v_add_f64 v[118:119], v[64:65], -v[56:57]
	v_add_f64 v[60:61], v[96:97], v[108:109]
	v_fma_f64 v[28:29], s[2:3], v[44:45], v[32:33]
	v_fmac_f64_e32 v[32:33], s[10:11], v[44:45]
	v_fmac_f64_e32 v[2:3], s[0:1], v[44:45]
	;; [unrolled: 1-line block ×3, first 2 shown]
	v_add_f64 v[44:45], v[112:113], v[0:1]
	v_fmac_f64_e32 v[26:27], s[12:13], v[62:63]
	v_fmac_f64_e32 v[30:31], s[0:1], v[62:63]
	v_add_f64 v[0:1], v[42:43], -v[14:15]
	v_fmac_f64_e32 v[26:27], s[6:7], v[60:61]
	v_fmac_f64_e32 v[30:31], s[6:7], v[60:61]
	v_add_f64 v[60:61], v[118:119], v[0:1]
	v_add_f64 v[0:1], v[56:57], v[14:15]
	v_fmac_f64_e32 v[28:29], s[0:1], v[34:35]
	v_fmac_f64_e32 v[32:33], s[12:13], v[34:35]
	v_fma_f64 v[34:35], -0.5, v[0:1], v[92:93]
	v_fma_f64 v[0:1], s[2:3], v[62:63], v[34:35]
	v_fmac_f64_e32 v[34:35], s[10:11], v[62:63]
	v_fmac_f64_e32 v[0:1], s[12:13], v[114:115]
	;; [unrolled: 1-line block ×5, first 2 shown]
	v_add_f64 v[60:61], v[92:93], v[64:65]
	v_add_f64 v[56:57], v[56:57], v[60:61]
	;; [unrolled: 1-line block ×3, first 2 shown]
	v_lshl_add_u64 v[56:57], v[148:149], 4, s[4:5]
	v_fmac_f64_e32 v[28:29], s[6:7], v[120:121]
	v_fmac_f64_e32 v[32:33], s[6:7], v[120:121]
	global_load_dwordx4 v[114:117], v[56:57], off offset:1808
	global_load_dwordx4 v[158:161], v[56:57], off offset:1792
	ds_read2_b64 v[118:121], v152 offset0:169 offset1:186
	global_load_dwordx4 v[162:165], v[56:57], off offset:1840
	global_load_dwordx4 v[166:169], v[56:57], off offset:1824
	v_add_f64 v[42:43], v[14:15], v[42:43]
	s_waitcnt vmcnt(7)
	v_mul_f64 v[14:15], v[54:55], v[100:101]
	s_waitcnt vmcnt(4)
	v_mul_f64 v[76:77], v[88:89], v[140:141]
	v_mul_f64 v[62:63], v[84:85], v[104:105]
	;; [unrolled: 1-line block ×3, first 2 shown]
	v_fmac_f64_e32 v[14:15], v[94:95], v[98:99]
	s_waitcnt lgkmcnt(1)
	v_fmac_f64_e32 v[76:77], v[156:157], v[138:139]
	s_waitcnt lgkmcnt(0)
	v_fmac_f64_e32 v[62:63], v[120:121], v[102:103]
	v_fmac_f64_e32 v[92:93], v[106:107], v[124:125]
	v_add_f64 v[56:57], v[14:15], -v[76:77]
	v_add_f64 v[60:61], v[62:63], -v[92:93]
	v_add_f64 v[56:57], v[56:57], v[60:61]
	v_mul_f64 v[60:61], v[156:157], v[140:141]
	v_fma_f64 v[88:89], v[88:89], v[138:139], -v[60:61]
	v_mul_f64 v[60:61], v[106:107], v[126:127]
	v_fma_f64 v[96:97], v[58:59], v[124:125], -v[60:61]
	v_add_f64 v[60:61], v[76:77], v[92:93]
	v_fma_f64 v[64:65], -0.5, v[60:61], v[68:69]
	v_mul_f64 v[60:61], v[94:95], v[100:101]
	v_fma_f64 v[94:95], v[54:55], v[98:99], -v[60:61]
	v_mul_f64 v[54:55], v[120:121], v[104:105]
	v_fma_f64 v[84:85], v[84:85], v[102:103], -v[54:55]
	v_add_f64 v[54:55], v[94:95], -v[84:85]
	v_add_f64 v[58:59], v[88:89], -v[96:97]
	v_fma_f64 v[60:61], s[2:3], v[54:55], v[64:65]
	v_fmac_f64_e32 v[64:65], s[10:11], v[54:55]
	v_fmac_f64_e32 v[60:61], s[0:1], v[58:59]
	;; [unrolled: 1-line block ×5, first 2 shown]
	v_add_f64 v[56:57], v[76:77], -v[14:15]
	v_add_f64 v[70:71], v[92:93], -v[62:63]
	v_add_f64 v[78:79], v[56:57], v[70:71]
	v_add_f64 v[56:57], v[14:15], v[62:63]
	v_fma_f64 v[70:71], -0.5, v[56:57], v[68:69]
	v_fma_f64 v[56:57], s[10:11], v[58:59], v[70:71]
	v_fmac_f64_e32 v[70:71], s[2:3], v[58:59]
	v_fmac_f64_e32 v[56:57], s[0:1], v[54:55]
	;; [unrolled: 1-line block ×3, first 2 shown]
	v_add_f64 v[54:55], v[76:77], v[68:69]
	v_add_f64 v[54:55], v[14:15], v[54:55]
	;; [unrolled: 1-line block ×3, first 2 shown]
	v_fmac_f64_e32 v[56:57], s[6:7], v[78:79]
	v_fmac_f64_e32 v[70:71], s[6:7], v[78:79]
	v_add_f64 v[78:79], v[92:93], v[54:55]
	v_add_f64 v[54:55], v[94:95], -v[88:89]
	v_add_f64 v[58:59], v[84:85], -v[96:97]
	v_add_f64 v[54:55], v[54:55], v[58:59]
	v_add_f64 v[58:59], v[88:89], v[96:97]
	v_add_f64 v[14:15], v[14:15], -v[62:63]
	v_fma_f64 v[62:63], -0.5, v[58:59], v[90:91]
	v_fma_f64 v[58:59], s[10:11], v[14:15], v[62:63]
	v_add_f64 v[76:77], v[76:77], -v[92:93]
	v_fmac_f64_e32 v[62:63], s[2:3], v[14:15]
	v_fmac_f64_e32 v[58:59], s[12:13], v[76:77]
	;; [unrolled: 1-line block ×5, first 2 shown]
	v_add_f64 v[54:55], v[88:89], -v[94:95]
	v_add_f64 v[68:69], v[96:97], -v[84:85]
	v_add_f64 v[92:93], v[54:55], v[68:69]
	v_add_f64 v[54:55], v[94:95], v[84:85]
	v_fma_f64 v[68:69], -0.5, v[54:55], v[90:91]
	v_fma_f64 v[54:55], s[2:3], v[76:77], v[68:69]
	v_fmac_f64_e32 v[68:69], s[10:11], v[76:77]
	ds_read2_b64 v[102:105], v152 offset0:33 offset1:50
	ds_read2_b64 v[170:173], v110 offset0:15 offset1:32
	v_fmac_f64_e32 v[54:55], s[12:13], v[14:15]
	v_fmac_f64_e32 v[68:69], s[0:1], v[14:15]
	v_add_f64 v[14:15], v[90:91], v[88:89]
	v_add_f64 v[14:15], v[94:95], v[14:15]
	;; [unrolled: 1-line block ×3, first 2 shown]
	v_lshlrev_b32_e32 v148, 2, v129
	v_add_f64 v[76:77], v[14:15], v[96:97]
	v_lshl_add_u64 v[88:89], v[148:149], 4, s[4:5]
	global_load_dwordx4 v[106:109], v[88:89], off offset:1808
	global_load_dwordx4 v[138:141], v[88:89], off offset:1792
	s_waitcnt vmcnt(5)
	v_mul_f64 v[14:15], v[52:53], v[116:117]
	s_waitcnt vmcnt(4)
	v_mul_f64 v[94:95], v[86:87], v[160:161]
	s_waitcnt vmcnt(2)
	v_mul_f64 v[90:91], v[82:83], v[168:169]
	v_mul_f64 v[98:99], v[74:75], v[164:165]
	s_waitcnt lgkmcnt(1)
	v_fmac_f64_e32 v[14:15], v[104:105], v[114:115]
	v_fmac_f64_e32 v[94:95], v[154:155], v[158:159]
	;; [unrolled: 1-line block ×3, first 2 shown]
	s_waitcnt lgkmcnt(0)
	v_fmac_f64_e32 v[98:99], v[172:173], v[162:163]
	v_add_f64 v[84:85], v[14:15], -v[94:95]
	global_load_dwordx4 v[174:177], v[88:89], off offset:1840
	global_load_dwordx4 v[110:113], v[88:89], off offset:1824
	v_add_f64 v[88:89], v[90:91], -v[98:99]
	v_add_f64 v[84:85], v[84:85], v[88:89]
	v_mul_f64 v[88:89], v[154:155], v[160:161]
	v_fma_f64 v[120:121], v[86:87], v[158:159], -v[88:89]
	ds_read_b64 v[86:87], v128
	v_mul_f64 v[88:89], v[172:173], v[164:165]
	v_fma_f64 v[74:75], v[74:75], v[162:163], -v[88:89]
	v_add_f64 v[88:89], v[94:95], v[98:99]
	v_fmac_f64_e32 v[54:55], s[6:7], v[92:93]
	v_fmac_f64_e32 v[68:69], s[6:7], v[92:93]
	s_waitcnt lgkmcnt(0)
	v_fma_f64 v[92:93], -0.5, v[88:89], v[86:87]
	v_mul_f64 v[88:89], v[104:105], v[116:117]
	v_fma_f64 v[52:53], v[52:53], v[114:115], -v[88:89]
	v_mul_f64 v[88:89], v[118:119], v[168:169]
	v_fma_f64 v[104:105], v[82:83], v[166:167], -v[88:89]
	v_add_f64 v[82:83], v[52:53], -v[104:105]
	v_add_f64 v[100:101], v[120:121], -v[74:75]
	v_fma_f64 v[88:89], s[2:3], v[82:83], v[92:93]
	v_fmac_f64_e32 v[92:93], s[10:11], v[82:83]
	v_fmac_f64_e32 v[88:89], s[0:1], v[100:101]
	;; [unrolled: 1-line block ×5, first 2 shown]
	v_add_f64 v[84:85], v[94:95], -v[14:15]
	v_add_f64 v[96:97], v[98:99], -v[90:91]
	v_add_f64 v[114:115], v[84:85], v[96:97]
	v_add_f64 v[84:85], v[14:15], v[90:91]
	v_fma_f64 v[96:97], -0.5, v[84:85], v[86:87]
	v_fma_f64 v[84:85], s[10:11], v[100:101], v[96:97]
	v_fmac_f64_e32 v[96:97], s[2:3], v[100:101]
	v_fmac_f64_e32 v[84:85], s[0:1], v[82:83]
	v_fmac_f64_e32 v[96:97], s[12:13], v[82:83]
	v_add_f64 v[82:83], v[94:95], v[86:87]
	v_add_f64 v[82:83], v[14:15], v[82:83]
	;; [unrolled: 1-line block ×4, first 2 shown]
	v_add_f64 v[82:83], v[52:53], -v[120:121]
	v_add_f64 v[86:87], v[104:105], -v[74:75]
	v_add_f64 v[82:83], v[82:83], v[86:87]
	v_add_f64 v[86:87], v[120:121], v[74:75]
	v_add_f64 v[14:15], v[14:15], -v[90:91]
	v_fma_f64 v[90:91], -0.5, v[86:87], v[122:123]
	v_fma_f64 v[86:87], s[10:11], v[14:15], v[90:91]
	v_add_f64 v[98:99], v[94:95], -v[98:99]
	v_fmac_f64_e32 v[90:91], s[2:3], v[14:15]
	v_fmac_f64_e32 v[86:87], s[12:13], v[98:99]
	;; [unrolled: 1-line block ×5, first 2 shown]
	v_add_f64 v[82:83], v[120:121], -v[52:53]
	v_add_f64 v[94:95], v[74:75], -v[104:105]
	v_fmac_f64_e32 v[84:85], s[6:7], v[114:115]
	v_fmac_f64_e32 v[96:97], s[6:7], v[114:115]
	v_add_f64 v[114:115], v[82:83], v[94:95]
	v_add_f64 v[82:83], v[52:53], v[104:105]
	v_fma_f64 v[94:95], -0.5, v[82:83], v[122:123]
	v_fma_f64 v[82:83], s[2:3], v[98:99], v[94:95]
	v_fmac_f64_e32 v[94:95], s[10:11], v[98:99]
	v_fmac_f64_e32 v[82:83], s[12:13], v[14:15]
	;; [unrolled: 1-line block ×3, first 2 shown]
	v_add_f64 v[14:15], v[122:123], v[120:121]
	v_add_f64 v[14:15], v[52:53], v[14:15]
	;; [unrolled: 1-line block ×3, first 2 shown]
	v_lshlrev_b32_e32 v148, 2, v178
	v_add_f64 v[98:99], v[14:15], v[74:75]
	v_lshl_add_u64 v[14:15], v[148:149], 4, s[4:5]
	v_fmac_f64_e32 v[82:83], s[6:7], v[114:115]
	v_fmac_f64_e32 v[94:95], s[6:7], v[114:115]
	ds_read2_b64 v[114:117], v253 offset0:153 offset1:170
	global_load_dwordx4 v[122:125], v[14:15], off offset:1808
	global_load_dwordx4 v[154:157], v[14:15], off offset:1792
	ds_read2_b64 v[118:121], v152 offset0:135 offset1:152
	global_load_dwordx4 v[158:161], v[14:15], off offset:1840
	global_load_dwordx4 v[126:129], v[14:15], off offset:1824
	v_fmac_f64_e32 v[2:3], s[6:7], v[130:131]
	v_fmac_f64_e32 v[36:37], s[6:7], v[130:131]
	s_waitcnt vmcnt(7)
	v_mul_f64 v[52:53], v[50:51], v[108:109]
	s_waitcnt vmcnt(6)
	v_mul_f64 v[130:131], v[48:49], v[140:141]
	v_fmac_f64_e32 v[52:53], v[102:103], v[106:107]
	s_waitcnt vmcnt(5)
	v_mul_f64 v[162:163], v[72:73], v[176:177]
	s_waitcnt vmcnt(4)
	v_mul_f64 v[134:135], v[40:41], v[112:113]
	s_waitcnt lgkmcnt(1)
	v_fmac_f64_e32 v[130:131], v[116:117], v[138:139]
	s_waitcnt lgkmcnt(0)
	v_fmac_f64_e32 v[134:135], v[120:121], v[110:111]
	v_fmac_f64_e32 v[162:163], v[170:171], v[174:175]
	v_add_f64 v[74:75], v[52:53], -v[130:131]
	v_add_f64 v[14:15], v[134:135], -v[162:163]
	v_add_f64 v[164:165], v[74:75], v[14:15]
	v_mul_f64 v[14:15], v[116:117], v[140:141]
	v_fma_f64 v[116:117], v[48:49], v[138:139], -v[14:15]
	ds_read_b64 v[48:49], v137
	v_mul_f64 v[14:15], v[170:171], v[176:177]
	v_add_f64 v[74:75], v[130:131], v[162:163]
	v_fma_f64 v[138:139], v[72:73], v[174:175], -v[14:15]
	ds_read_b64 v[14:15], v136
	s_waitcnt lgkmcnt(1)
	v_fma_f64 v[104:105], -0.5, v[74:75], v[48:49]
	v_mul_f64 v[74:75], v[102:103], v[108:109]
	v_fma_f64 v[136:137], v[50:51], v[106:107], -v[74:75]
	v_mul_f64 v[50:51], v[120:121], v[112:113]
	v_fma_f64 v[40:41], v[40:41], v[110:111], -v[50:51]
	v_add_f64 v[50:51], v[130:131], -v[52:53]
	v_add_f64 v[106:107], v[162:163], -v[134:135]
	v_add_f64 v[106:107], v[50:51], v[106:107]
	v_add_f64 v[50:51], v[52:53], v[134:135]
	v_fma_f64 v[108:109], -0.5, v[50:51], v[48:49]
	v_add_f64 v[48:49], v[130:131], v[48:49]
	v_add_f64 v[102:103], v[136:137], -v[40:41]
	v_add_f64 v[48:49], v[52:53], v[48:49]
	v_add_f64 v[72:73], v[116:117], -v[138:139]
	v_fma_f64 v[74:75], s[2:3], v[102:103], v[104:105]
	v_fmac_f64_e32 v[104:105], s[10:11], v[102:103]
	v_add_f64 v[48:49], v[134:135], v[48:49]
	v_fmac_f64_e32 v[74:75], s[0:1], v[72:73]
	v_fmac_f64_e32 v[104:105], s[12:13], v[72:73]
	v_fma_f64 v[50:51], s[10:11], v[72:73], v[108:109]
	v_fmac_f64_e32 v[108:109], s[2:3], v[72:73]
	v_add_f64 v[112:113], v[162:163], v[48:49]
	v_add_f64 v[48:49], v[136:137], -v[116:117]
	v_add_f64 v[72:73], v[40:41], -v[138:139]
	v_add_f64 v[48:49], v[48:49], v[72:73]
	v_add_f64 v[72:73], v[116:117], v[138:139]
	v_fmac_f64_e32 v[50:51], s[0:1], v[102:103]
	v_fmac_f64_e32 v[108:109], s[12:13], v[102:103]
	v_add_f64 v[52:53], v[52:53], -v[134:135]
	v_fma_f64 v[102:103], -0.5, v[72:73], v[132:133]
	v_fma_f64 v[72:73], s[10:11], v[52:53], v[102:103]
	v_add_f64 v[110:111], v[130:131], -v[162:163]
	v_fmac_f64_e32 v[102:103], s[2:3], v[52:53]
	v_fmac_f64_e32 v[72:73], s[12:13], v[110:111]
	;; [unrolled: 1-line block ×7, first 2 shown]
	v_add_f64 v[48:49], v[116:117], -v[136:137]
	v_add_f64 v[106:107], v[138:139], -v[40:41]
	v_add_f64 v[120:121], v[48:49], v[106:107]
	v_add_f64 v[48:49], v[136:137], v[40:41]
	v_fma_f64 v[106:107], -0.5, v[48:49], v[132:133]
	v_fma_f64 v[48:49], s[2:3], v[110:111], v[106:107]
	v_fmac_f64_e32 v[106:107], s[10:11], v[110:111]
	v_add_u32_e32 v110, 0x400, v253
	v_fmac_f64_e32 v[74:75], s[6:7], v[164:165]
	v_fmac_f64_e32 v[104:105], s[6:7], v[164:165]
	v_fmac_f64_e32 v[48:49], s[12:13], v[52:53]
	v_fmac_f64_e32 v[106:107], s[0:1], v[52:53]
	v_add_f64 v[52:53], v[132:133], v[116:117]
	ds_read2_b64 v[130:133], v110 offset0:127 offset1:144
	ds_read2_b64 v[162:165], v152 offset0:237 offset1:254
	v_add_f64 v[52:53], v[136:137], v[52:53]
	v_lshlrev_b32_e32 v148, 2, v236
	v_add_f64 v[40:41], v[52:53], v[40:41]
	v_lshl_add_u64 v[116:117], v[148:149], 4, s[4:5]
	v_add_f64 v[110:111], v[40:41], v[138:139]
	global_load_dwordx4 v[134:137], v[116:117], off offset:1808
	global_load_dwordx4 v[166:169], v[116:117], off offset:1792
	;; [unrolled: 1-line block ×4, first 2 shown]
	s_waitcnt vmcnt(7)
	v_mul_f64 v[52:53], v[20:21], v[124:125]
	s_waitcnt vmcnt(6)
	v_mul_f64 v[174:175], v[46:47], v[156:157]
	;; [unrolled: 2-line block ×3, first 2 shown]
	v_mul_f64 v[178:179], v[24:25], v[160:161]
	s_waitcnt lgkmcnt(1)
	v_fmac_f64_e32 v[52:53], v[132:133], v[122:123]
	v_fmac_f64_e32 v[174:175], v[114:115], v[154:155]
	;; [unrolled: 1-line block ×3, first 2 shown]
	s_waitcnt lgkmcnt(0)
	v_fmac_f64_e32 v[178:179], v[164:165], v[158:159]
	v_add_f64 v[40:41], v[52:53], -v[174:175]
	v_add_f64 v[116:117], v[176:177], -v[178:179]
	v_add_f64 v[40:41], v[40:41], v[116:117]
	v_add_f64 v[116:117], v[174:175], v[178:179]
	v_fmac_f64_e32 v[48:49], s[6:7], v[120:121]
	v_fmac_f64_e32 v[106:107], s[6:7], v[120:121]
	v_fma_f64 v[120:121], -0.5, v[116:117], v[14:15]
	v_mul_f64 v[116:117], v[132:133], v[124:125]
	v_mul_f64 v[114:115], v[114:115], v[156:157]
	v_fma_f64 v[20:21], v[20:21], v[122:123], -v[116:117]
	v_mul_f64 v[116:117], v[118:119], v[128:129]
	v_fma_f64 v[154:155], v[46:47], v[154:155], -v[114:115]
	;; [unrolled: 2-line block ×3, first 2 shown]
	v_fma_f64 v[24:25], v[24:25], v[158:159], -v[46:47]
	v_add_f64 v[38:39], v[20:21], -v[126:127]
	v_add_f64 v[114:115], v[154:155], -v[24:25]
	v_fma_f64 v[116:117], s[2:3], v[38:39], v[120:121]
	v_fmac_f64_e32 v[120:121], s[10:11], v[38:39]
	v_fmac_f64_e32 v[116:117], s[0:1], v[114:115]
	;; [unrolled: 1-line block ×5, first 2 shown]
	v_add_f64 v[40:41], v[174:175], -v[52:53]
	v_add_f64 v[118:119], v[178:179], -v[176:177]
	v_add_f64 v[118:119], v[40:41], v[118:119]
	v_add_f64 v[40:41], v[52:53], v[176:177]
	v_fma_f64 v[124:125], -0.5, v[40:41], v[14:15]
	v_add_f64 v[14:15], v[174:175], v[14:15]
	v_add_f64 v[14:15], v[52:53], v[14:15]
	v_fma_f64 v[40:41], s[10:11], v[114:115], v[124:125]
	v_fmac_f64_e32 v[124:125], s[2:3], v[114:115]
	v_add_f64 v[14:15], v[176:177], v[14:15]
	v_fmac_f64_e32 v[40:41], s[0:1], v[38:39]
	v_fmac_f64_e32 v[124:125], s[12:13], v[38:39]
	v_add_f64 v[128:129], v[178:179], v[14:15]
	v_add_f64 v[14:15], v[20:21], -v[154:155]
	v_add_f64 v[38:39], v[126:127], -v[24:25]
	v_add_f64 v[14:15], v[14:15], v[38:39]
	v_add_f64 v[38:39], v[154:155], v[24:25]
	v_fmac_f64_e32 v[40:41], s[6:7], v[118:119]
	v_fmac_f64_e32 v[124:125], s[6:7], v[118:119]
	v_add_f64 v[52:53], v[52:53], -v[176:177]
	v_fma_f64 v[118:119], -0.5, v[38:39], v[146:147]
	v_fma_f64 v[114:115], s[10:11], v[52:53], v[118:119]
	v_add_f64 v[132:133], v[174:175], -v[178:179]
	v_fmac_f64_e32 v[118:119], s[2:3], v[52:53]
	v_fmac_f64_e32 v[114:115], s[12:13], v[132:133]
	;; [unrolled: 1-line block ×5, first 2 shown]
	v_add_f64 v[14:15], v[154:155], -v[20:21]
	v_add_f64 v[38:39], v[24:25], -v[126:127]
	v_add_f64 v[14:15], v[14:15], v[38:39]
	v_add_f64 v[38:39], v[20:21], v[126:127]
	v_fma_f64 v[122:123], -0.5, v[38:39], v[146:147]
	v_fma_f64 v[38:39], s[2:3], v[132:133], v[122:123]
	v_fmac_f64_e32 v[122:123], s[10:11], v[132:133]
	v_fmac_f64_e32 v[38:39], s[12:13], v[52:53]
	;; [unrolled: 1-line block ×5, first 2 shown]
	v_add_f64 v[14:15], v[146:147], v[154:155]
	v_lshlrev_b32_e32 v148, 2, v252
	v_accvgpr_read_b32 v46, a6
	v_add_f64 v[14:15], v[20:21], v[14:15]
	v_lshl_add_u64 v[20:21], v[148:149], 4, s[4:5]
	ds_read_b64 v[46:47], v46
	global_load_dwordx4 v[146:149], v[20:21], off offset:1808
	global_load_dwordx4 v[154:157], v[20:21], off offset:1792
	ds_read2_b64 v[158:161], v253 offset0:119 offset1:136
	global_load_dwordx4 v[174:177], v[20:21], off offset:1840
	global_load_dwordx4 v[178:181], v[20:21], off offset:1824
	ds_read2_b64 v[182:185], v152 offset0:101 offset1:118
	s_waitcnt vmcnt(7)
	v_mul_f64 v[52:53], v[18:19], v[136:137]
	s_waitcnt vmcnt(6)
	v_mul_f64 v[152:153], v[12:13], v[168:169]
	;; [unrolled: 2-line block ×3, first 2 shown]
	v_mul_f64 v[186:187], v[22:23], v[172:173]
	v_add_f64 v[14:15], v[14:15], v[126:127]
	v_fmac_f64_e32 v[52:53], v[130:131], v[134:135]
	s_waitcnt lgkmcnt(1)
	v_fmac_f64_e32 v[152:153], v[160:161], v[166:167]
	s_waitcnt lgkmcnt(0)
	v_fmac_f64_e32 v[164:165], v[184:185], v[138:139]
	v_fmac_f64_e32 v[186:187], v[162:163], v[170:171]
	v_add_f64 v[126:127], v[14:15], v[24:25]
	v_add_f64 v[14:15], v[52:53], -v[152:153]
	v_add_f64 v[20:21], v[164:165], -v[186:187]
	v_add_f64 v[14:15], v[14:15], v[20:21]
	v_mul_f64 v[20:21], v[160:161], v[168:169]
	v_fma_f64 v[160:161], v[12:13], v[166:167], -v[20:21]
	v_add_f64 v[20:21], v[152:153], v[186:187]
	v_fma_f64 v[24:25], -0.5, v[20:21], v[46:47]
	v_mul_f64 v[20:21], v[130:131], v[136:137]
	v_fma_f64 v[134:135], v[18:19], v[134:135], -v[20:21]
	v_mul_f64 v[18:19], v[184:185], v[140:141]
	v_mul_f64 v[12:13], v[162:163], v[172:173]
	v_fma_f64 v[8:9], v[8:9], v[138:139], -v[18:19]
	v_fma_f64 v[162:163], v[22:23], v[170:171], -v[12:13]
	v_add_f64 v[18:19], v[134:135], -v[8:9]
	v_add_f64 v[12:13], v[160:161], -v[162:163]
	v_fma_f64 v[20:21], s[2:3], v[18:19], v[24:25]
	v_fmac_f64_e32 v[24:25], s[10:11], v[18:19]
	v_accvgpr_read_b32 v22, a5
	v_fmac_f64_e32 v[20:21], s[0:1], v[12:13]
	v_fmac_f64_e32 v[24:25], s[12:13], v[12:13]
	ds_read_b64 v[166:167], v22
	v_fmac_f64_e32 v[20:21], s[6:7], v[14:15]
	v_fmac_f64_e32 v[24:25], s[6:7], v[14:15]
	v_add_f64 v[14:15], v[152:153], -v[52:53]
	v_add_f64 v[22:23], v[186:187], -v[164:165]
	v_add_f64 v[22:23], v[14:15], v[22:23]
	v_add_f64 v[14:15], v[52:53], v[164:165]
	v_fma_f64 v[132:133], -0.5, v[14:15], v[46:47]
	v_fma_f64 v[14:15], s[10:11], v[12:13], v[132:133]
	v_fmac_f64_e32 v[132:133], s[2:3], v[12:13]
	v_add_f64 v[12:13], v[152:153], v[46:47]
	v_add_f64 v[12:13], v[52:53], v[12:13]
	;; [unrolled: 1-line block ×3, first 2 shown]
	v_fmac_f64_e32 v[14:15], s[0:1], v[18:19]
	v_fmac_f64_e32 v[132:133], s[12:13], v[18:19]
	v_add_f64 v[136:137], v[186:187], v[12:13]
	v_add_f64 v[12:13], v[134:135], -v[160:161]
	v_add_f64 v[18:19], v[8:9], -v[162:163]
	v_add_f64 v[12:13], v[12:13], v[18:19]
	v_add_f64 v[18:19], v[160:161], v[162:163]
	v_fmac_f64_e32 v[14:15], s[6:7], v[22:23]
	v_fmac_f64_e32 v[132:133], s[6:7], v[22:23]
	v_add_f64 v[46:47], v[52:53], -v[164:165]
	v_fma_f64 v[22:23], -0.5, v[18:19], v[144:145]
	v_fma_f64 v[18:19], s[10:11], v[46:47], v[22:23]
	v_add_f64 v[52:53], v[152:153], -v[186:187]
	v_fmac_f64_e32 v[22:23], s[2:3], v[46:47]
	v_fmac_f64_e32 v[18:19], s[12:13], v[52:53]
	;; [unrolled: 1-line block ×5, first 2 shown]
	v_add_f64 v[12:13], v[160:161], -v[134:135]
	v_add_f64 v[130:131], v[162:163], -v[8:9]
	v_add_f64 v[138:139], v[12:13], v[130:131]
	v_add_f64 v[12:13], v[134:135], v[8:9]
	v_fma_f64 v[130:131], -0.5, v[12:13], v[144:145]
	v_fma_f64 v[12:13], s[2:3], v[52:53], v[130:131]
	v_fmac_f64_e32 v[130:131], s[10:11], v[52:53]
	v_fmac_f64_e32 v[12:13], s[12:13], v[46:47]
	;; [unrolled: 1-line block ×3, first 2 shown]
	v_add_f64 v[46:47], v[144:145], v[160:161]
	v_add_f64 v[46:47], v[134:135], v[46:47]
	v_fmac_f64_e32 v[12:13], s[6:7], v[138:139]
	v_fmac_f64_e32 v[130:131], s[6:7], v[138:139]
	v_add_f64 v[8:9], v[46:47], v[8:9]
	s_waitcnt vmcnt(3)
	v_mul_f64 v[46:47], v[4:5], v[148:149]
	s_waitcnt vmcnt(2)
	v_mul_f64 v[52:53], v[10:11], v[156:157]
	;; [unrolled: 2-line block ×4, first 2 shown]
	v_fmac_f64_e32 v[46:47], v[66:67], v[146:147]
	v_fmac_f64_e32 v[52:53], v[158:159], v[154:155]
	;; [unrolled: 1-line block ×4, first 2 shown]
	v_add_f64 v[134:135], v[8:9], v[162:163]
	v_add_f64 v[8:9], v[46:47], -v[52:53]
	v_add_f64 v[140:141], v[138:139], -v[144:145]
	v_add_f64 v[152:153], v[8:9], v[140:141]
	v_mul_f64 v[8:9], v[158:159], v[156:157]
	v_mul_f64 v[66:67], v[66:67], v[148:149]
	v_fma_f64 v[10:11], v[10:11], v[154:155], -v[8:9]
	v_mul_f64 v[8:9], v[80:81], v[176:177]
	v_fma_f64 v[4:5], v[4:5], v[146:147], -v[66:67]
	v_add_f64 v[146:147], v[52:53], -v[46:47]
	v_add_f64 v[148:149], v[144:145], -v[138:139]
	v_fma_f64 v[16:17], v[16:17], v[174:175], -v[8:9]
	v_mul_f64 v[66:67], v[182:183], v[180:181]
	v_add_f64 v[148:149], v[146:147], v[148:149]
	v_add_f64 v[146:147], v[46:47], v[138:139]
	v_add_f64 v[80:81], v[10:11], -v[16:17]
	v_add_f64 v[8:9], v[52:53], v[144:145]
	v_fma_f64 v[66:67], v[6:7], v[178:179], -v[66:67]
	s_waitcnt lgkmcnt(0)
	v_fma_f64 v[146:147], -0.5, v[146:147], v[166:167]
	v_fma_f64 v[8:9], -0.5, v[8:9], v[166:167]
	v_add_f64 v[6:7], v[4:5], -v[66:67]
	v_fma_f64 v[154:155], s[10:11], v[80:81], v[146:147]
	v_fmac_f64_e32 v[146:147], s[2:3], v[80:81]
	v_fma_f64 v[140:141], s[2:3], v[6:7], v[8:9]
	v_fmac_f64_e32 v[8:9], s[10:11], v[6:7]
	v_fmac_f64_e32 v[154:155], s[0:1], v[6:7]
	;; [unrolled: 1-line block ×3, first 2 shown]
	v_add_f64 v[6:7], v[52:53], v[166:167]
	v_add_f64 v[6:7], v[46:47], v[6:7]
	v_add_f64 v[6:7], v[138:139], v[6:7]
	v_fmac_f64_e32 v[140:141], s[0:1], v[80:81]
	v_fmac_f64_e32 v[8:9], s[12:13], v[80:81]
	v_add_f64 v[158:159], v[144:145], v[6:7]
	v_add_f64 v[6:7], v[4:5], -v[10:11]
	v_add_f64 v[80:81], v[66:67], -v[16:17]
	v_add_f64 v[80:81], v[6:7], v[80:81]
	v_add_f64 v[6:7], v[10:11], v[16:17]
	v_add_f64 v[46:47], v[46:47], -v[138:139]
	v_fma_f64 v[6:7], -0.5, v[6:7], v[142:143]
	v_fma_f64 v[138:139], s[10:11], v[46:47], v[6:7]
	v_add_f64 v[52:53], v[52:53], -v[144:145]
	v_fmac_f64_e32 v[6:7], s[2:3], v[46:47]
	v_fmac_f64_e32 v[138:139], s[12:13], v[52:53]
	;; [unrolled: 1-line block ×5, first 2 shown]
	v_add_f64 v[80:81], v[10:11], -v[4:5]
	v_add_f64 v[144:145], v[16:17], -v[66:67]
	v_add_f64 v[80:81], v[80:81], v[144:145]
	v_add_f64 v[144:145], v[4:5], v[66:67]
	v_add_f64 v[10:11], v[142:143], v[10:11]
	v_fma_f64 v[144:145], -0.5, v[144:145], v[142:143]
	v_add_f64 v[4:5], v[4:5], v[10:11]
	v_fmac_f64_e32 v[140:141], s[6:7], v[152:153]
	v_fmac_f64_e32 v[8:9], s[6:7], v[152:153]
	v_fma_f64 v[152:153], s[2:3], v[52:53], v[144:145]
	v_fmac_f64_e32 v[144:145], s[10:11], v[52:53]
	v_add_f64 v[4:5], v[4:5], v[66:67]
	v_fmac_f64_e32 v[144:145], s[0:1], v[46:47]
	v_add_f64 v[156:157], v[4:5], v[16:17]
	v_mad_u64_u32 v[4:5], s[0:1], s8, v252, 0
	v_mov_b32_e32 v10, v5
	v_mad_u64_u32 v[10:11], s[0:1], s9, v252, v[10:11]
	v_mov_b32_e32 v5, v10
	v_lshl_add_u64 v[4:5], v[4:5], 4, v[230:231]
	v_add_u32_e32 v11, 0x77, v252
	global_store_dwordx4 v[4:5], v[156:159], off
	v_mad_u64_u32 v[4:5], s[0:1], s8, v11, 0
	v_mov_b32_e32 v10, v5
	v_mad_u64_u32 v[10:11], s[0:1], s9, v11, v[10:11]
	v_mov_b32_e32 v5, v10
	v_fmac_f64_e32 v[146:147], s[6:7], v[148:149]
	v_fmac_f64_e32 v[144:145], s[6:7], v[80:81]
	v_lshl_add_u64 v[4:5], v[4:5], 4, v[230:231]
	v_add_u32_e32 v11, 0xee, v252
	global_store_dwordx4 v[4:5], v[144:147], off
	v_mad_u64_u32 v[4:5], s[0:1], s8, v11, 0
	v_mov_b32_e32 v10, v5
	v_mad_u64_u32 v[10:11], s[0:1], s9, v11, v[10:11]
	v_mov_b32_e32 v5, v10
	v_lshl_add_u64 v[4:5], v[4:5], 4, v[230:231]
	global_store_dwordx4 v[4:5], v[6:9], off
	v_fmac_f64_e32 v[152:153], s[12:13], v[46:47]
	v_fmac_f64_e32 v[154:155], s[6:7], v[148:149]
	v_add_u32_e32 v7, 0x165, v252
	v_mad_u64_u32 v[4:5], s[0:1], s8, v7, 0
	v_mov_b32_e32 v6, v5
	v_mad_u64_u32 v[6:7], s[0:1], s9, v7, v[6:7]
	v_mov_b32_e32 v5, v6
	v_lshl_add_u64 v[4:5], v[4:5], 4, v[230:231]
	v_add_u32_e32 v7, 0x1dc, v252
	global_store_dwordx4 v[4:5], v[138:141], off
	v_mad_u64_u32 v[4:5], s[2:3], s8, v7, 0
	v_mov_b32_e32 v6, v5
	v_mad_u64_u32 v[6:7], s[2:3], s9, v7, v[6:7]
	v_mov_b32_e32 v5, v6
	v_fmac_f64_e32 v[152:153], s[6:7], v[80:81]
	v_lshl_add_u64 v[4:5], v[4:5], 4, v[230:231]
	v_accvgpr_read_b32 v7, a2
	global_store_dwordx4 v[4:5], v[152:155], off
	v_mad_u64_u32 v[4:5], s[2:3], s8, v7, 0
	v_mov_b32_e32 v6, v5
	v_mad_u64_u32 v[6:7], s[2:3], s9, v7, v[6:7]
	v_mov_b32_e32 v5, v6
	v_lshl_add_u64 v[4:5], v[4:5], 4, v[230:231]
	v_add_u32_e32 v7, 0x88, v252
	global_store_dwordx4 v[4:5], v[134:137], off
	v_mad_u64_u32 v[4:5], s[2:3], s8, v7, 0
	v_mov_b32_e32 v6, v5
	v_mad_u64_u32 v[6:7], s[2:3], s9, v7, v[6:7]
	v_mov_b32_e32 v5, v6
	v_lshl_add_u64 v[4:5], v[4:5], 4, v[230:231]
	v_add_u32_e32 v7, 0xff, v252
	;; [unrolled: 7-line block ×4, first 2 shown]
	global_store_dwordx4 v[4:5], v[18:21], off
	v_mad_u64_u32 v[4:5], s[2:3], s8, v7, 0
	v_mov_b32_e32 v6, v5
	v_mad_u64_u32 v[6:7], s[2:3], s9, v7, v[6:7]
	v_mov_b32_e32 v5, v6
	v_lshl_add_u64 v[4:5], v[4:5], 4, v[230:231]
	global_store_dwordx4 v[4:5], v[12:15], off
	s_mov_b32 s1, 0x44d72045
	v_accvgpr_read_b32 v5, a1
	v_mul_hi_u32 v4, v5, s1
	s_movk_i32 s0, 0x1dc
	v_lshrrev_b32_e32 v4, 5, v4
	v_mad_u32_u24 v8, v4, s0, v5
	v_mad_u64_u32 v[4:5], s[2:3], s8, v8, 0
	v_mov_b32_e32 v6, v5
	v_mad_u64_u32 v[6:7], s[2:3], s9, v8, v[6:7]
	v_mov_b32_e32 v5, v6
	v_lshl_add_u64 v[4:5], v[4:5], 4, v[230:231]
	v_add_u32_e32 v7, 0x77, v8
	global_store_dwordx4 v[4:5], v[126:129], off
	v_mad_u64_u32 v[4:5], s[2:3], s8, v7, 0
	v_mov_b32_e32 v6, v5
	v_mad_u64_u32 v[6:7], s[2:3], s9, v7, v[6:7]
	v_mov_b32_e32 v5, v6
	v_lshl_add_u64 v[4:5], v[4:5], 4, v[230:231]
	v_add_u32_e32 v7, 0xee, v8
	global_store_dwordx4 v[4:5], v[122:125], off
	;; [unrolled: 7-line block ×4, first 2 shown]
	v_mad_u64_u32 v[4:5], s[2:3], s8, v7, 0
	v_mov_b32_e32 v6, v5
	v_mad_u64_u32 v[6:7], s[2:3], s9, v7, v[6:7]
	v_mov_b32_e32 v5, v6
	v_lshl_add_u64 v[4:5], v[4:5], 4, v[230:231]
	global_store_dwordx4 v[4:5], v[38:41], off
	v_accvgpr_read_b32 v5, a0
	v_mul_hi_u32 v4, v5, s1
	v_lshrrev_b32_e32 v4, 5, v4
	v_mad_u32_u24 v8, v4, s0, v5
	v_mad_u64_u32 v[4:5], s[2:3], s8, v8, 0
	v_mov_b32_e32 v6, v5
	v_mad_u64_u32 v[6:7], s[2:3], s9, v8, v[6:7]
	v_mov_b32_e32 v5, v6
	v_lshl_add_u64 v[4:5], v[4:5], 4, v[230:231]
	v_add_u32_e32 v7, 0x77, v8
	global_store_dwordx4 v[4:5], v[110:113], off
	v_mad_u64_u32 v[4:5], s[2:3], s8, v7, 0
	v_mov_b32_e32 v6, v5
	v_mad_u64_u32 v[6:7], s[2:3], s9, v7, v[6:7]
	v_mov_b32_e32 v5, v6
	v_lshl_add_u64 v[4:5], v[4:5], 4, v[230:231]
	v_add_u32_e32 v7, 0xee, v8
	global_store_dwordx4 v[4:5], v[106:109], off
	;; [unrolled: 7-line block ×4, first 2 shown]
	v_mad_u64_u32 v[4:5], s[2:3], s8, v7, 0
	v_mov_b32_e32 v6, v5
	v_mad_u64_u32 v[6:7], s[2:3], s9, v7, v[6:7]
	v_mov_b32_e32 v5, v6
	v_lshl_add_u64 v[4:5], v[4:5], 4, v[230:231]
	global_store_dwordx4 v[4:5], v[48:51], off
	v_add_u32_e32 v4, 0x44, v252
	v_mul_hi_u32 v5, v4, s1
	v_lshrrev_b32_e32 v5, 5, v5
	v_mad_u32_u24 v8, v5, s0, v4
	v_mad_u64_u32 v[4:5], s[2:3], s8, v8, 0
	v_mov_b32_e32 v6, v5
	v_mad_u64_u32 v[6:7], s[2:3], s9, v8, v[6:7]
	v_mov_b32_e32 v5, v6
	v_lshl_add_u64 v[4:5], v[4:5], 4, v[230:231]
	v_add_u32_e32 v7, 0x77, v8
	global_store_dwordx4 v[4:5], v[98:101], off
	v_mad_u64_u32 v[4:5], s[2:3], s8, v7, 0
	v_mov_b32_e32 v6, v5
	v_mad_u64_u32 v[6:7], s[2:3], s9, v7, v[6:7]
	v_mov_b32_e32 v5, v6
	v_lshl_add_u64 v[4:5], v[4:5], 4, v[230:231]
	v_add_u32_e32 v7, 0xee, v8
	global_store_dwordx4 v[4:5], v[94:97], off
	v_mad_u64_u32 v[4:5], s[2:3], s8, v7, 0
	v_mov_b32_e32 v6, v5
	v_mad_u64_u32 v[6:7], s[2:3], s9, v7, v[6:7]
	v_mov_b32_e32 v5, v6
	v_lshl_add_u64 v[4:5], v[4:5], 4, v[230:231]
	v_add_u32_e32 v7, 0x165, v8
	global_store_dwordx4 v[4:5], v[90:93], off
	v_mad_u64_u32 v[4:5], s[2:3], s8, v7, 0
	v_mov_b32_e32 v6, v5
	v_mad_u64_u32 v[6:7], s[2:3], s9, v7, v[6:7]
	v_mov_b32_e32 v5, v6
	v_lshl_add_u64 v[4:5], v[4:5], 4, v[230:231]
	v_add_u32_e32 v7, 0x1dc, v8
	global_store_dwordx4 v[4:5], v[86:89], off
	v_mad_u64_u32 v[4:5], s[2:3], s8, v7, 0
	v_mov_b32_e32 v6, v5
	v_mad_u64_u32 v[6:7], s[2:3], s9, v7, v[6:7]
	v_mov_b32_e32 v5, v6
	v_lshl_add_u64 v[4:5], v[4:5], 4, v[230:231]
	global_store_dwordx4 v[4:5], v[82:85], off
	v_mul_hi_u32 v4, v151, s1
	v_lshrrev_b32_e32 v4, 5, v4
	v_mad_u32_u24 v8, v4, s0, v151
	v_mad_u64_u32 v[4:5], s[2:3], s8, v8, 0
	v_mov_b32_e32 v6, v5
	v_mad_u64_u32 v[6:7], s[2:3], s9, v8, v[6:7]
	v_mov_b32_e32 v5, v6
	v_lshl_add_u64 v[4:5], v[4:5], 4, v[230:231]
	v_add_u32_e32 v7, 0x77, v8
	global_store_dwordx4 v[4:5], v[76:79], off
	v_mad_u64_u32 v[4:5], s[2:3], s8, v7, 0
	v_mov_b32_e32 v6, v5
	v_mad_u64_u32 v[6:7], s[2:3], s9, v7, v[6:7]
	v_mov_b32_e32 v5, v6
	v_lshl_add_u64 v[4:5], v[4:5], 4, v[230:231]
	v_add_u32_e32 v7, 0xee, v8
	global_store_dwordx4 v[4:5], v[68:71], off
	v_mad_u64_u32 v[4:5], s[2:3], s8, v7, 0
	v_mov_b32_e32 v6, v5
	v_mad_u64_u32 v[6:7], s[2:3], s9, v7, v[6:7]
	v_mov_b32_e32 v5, v6
	v_lshl_add_u64 v[4:5], v[4:5], 4, v[230:231]
	v_add_u32_e32 v7, 0x165, v8
	global_store_dwordx4 v[4:5], v[62:65], off
	v_mad_u64_u32 v[4:5], s[2:3], s8, v7, 0
	v_mov_b32_e32 v6, v5
	v_mad_u64_u32 v[6:7], s[2:3], s9, v7, v[6:7]
	v_mov_b32_e32 v5, v6
	v_lshl_add_u64 v[4:5], v[4:5], 4, v[230:231]
	v_add_u32_e32 v7, 0x1dc, v8
	global_store_dwordx4 v[4:5], v[58:61], off
	v_mad_u64_u32 v[4:5], s[2:3], s8, v7, 0
	v_mov_b32_e32 v6, v5
	v_mad_u64_u32 v[6:7], s[2:3], s9, v7, v[6:7]
	v_mov_b32_e32 v5, v6
	v_lshl_add_u64 v[4:5], v[4:5], 4, v[230:231]
	global_store_dwordx4 v[4:5], v[54:57], off
	;; [unrolled: 37-line block ×3, first 2 shown]
.LBB0_22:
	s_endpgm
	.section	.rodata,"a",@progbits
	.p2align	6, 0x0
	.amdhsa_kernel fft_rtc_fwd_len595_factors_7_17_5_wgs_51_tpt_17_halfLds_dp_ip_CI_sbrr_dirReg
		.amdhsa_group_segment_fixed_size 0
		.amdhsa_private_segment_fixed_size 0
		.amdhsa_kernarg_size 88
		.amdhsa_user_sgpr_count 2
		.amdhsa_user_sgpr_dispatch_ptr 0
		.amdhsa_user_sgpr_queue_ptr 0
		.amdhsa_user_sgpr_kernarg_segment_ptr 1
		.amdhsa_user_sgpr_dispatch_id 0
		.amdhsa_user_sgpr_kernarg_preload_length 0
		.amdhsa_user_sgpr_kernarg_preload_offset 0
		.amdhsa_user_sgpr_private_segment_size 0
		.amdhsa_uses_dynamic_stack 0
		.amdhsa_enable_private_segment 0
		.amdhsa_system_sgpr_workgroup_id_x 1
		.amdhsa_system_sgpr_workgroup_id_y 0
		.amdhsa_system_sgpr_workgroup_id_z 0
		.amdhsa_system_sgpr_workgroup_info 0
		.amdhsa_system_vgpr_workitem_id 0
		.amdhsa_next_free_vgpr 328
		.amdhsa_next_free_sgpr 58
		.amdhsa_accum_offset 256
		.amdhsa_reserve_vcc 1
		.amdhsa_float_round_mode_32 0
		.amdhsa_float_round_mode_16_64 0
		.amdhsa_float_denorm_mode_32 3
		.amdhsa_float_denorm_mode_16_64 3
		.amdhsa_dx10_clamp 1
		.amdhsa_ieee_mode 1
		.amdhsa_fp16_overflow 0
		.amdhsa_tg_split 0
		.amdhsa_exception_fp_ieee_invalid_op 0
		.amdhsa_exception_fp_denorm_src 0
		.amdhsa_exception_fp_ieee_div_zero 0
		.amdhsa_exception_fp_ieee_overflow 0
		.amdhsa_exception_fp_ieee_underflow 0
		.amdhsa_exception_fp_ieee_inexact 0
		.amdhsa_exception_int_div_zero 0
	.end_amdhsa_kernel
	.text
.Lfunc_end0:
	.size	fft_rtc_fwd_len595_factors_7_17_5_wgs_51_tpt_17_halfLds_dp_ip_CI_sbrr_dirReg, .Lfunc_end0-fft_rtc_fwd_len595_factors_7_17_5_wgs_51_tpt_17_halfLds_dp_ip_CI_sbrr_dirReg
                                        ; -- End function
	.section	.AMDGPU.csdata,"",@progbits
; Kernel info:
; codeLenInByte = 34300
; NumSgprs: 64
; NumVgprs: 256
; NumAgprs: 72
; TotalNumVgprs: 328
; ScratchSize: 0
; MemoryBound: 1
; FloatMode: 240
; IeeeMode: 1
; LDSByteSize: 0 bytes/workgroup (compile time only)
; SGPRBlocks: 7
; VGPRBlocks: 40
; NumSGPRsForWavesPerEU: 64
; NumVGPRsForWavesPerEU: 328
; AccumOffset: 256
; Occupancy: 1
; WaveLimiterHint : 1
; COMPUTE_PGM_RSRC2:SCRATCH_EN: 0
; COMPUTE_PGM_RSRC2:USER_SGPR: 2
; COMPUTE_PGM_RSRC2:TRAP_HANDLER: 0
; COMPUTE_PGM_RSRC2:TGID_X_EN: 1
; COMPUTE_PGM_RSRC2:TGID_Y_EN: 0
; COMPUTE_PGM_RSRC2:TGID_Z_EN: 0
; COMPUTE_PGM_RSRC2:TIDIG_COMP_CNT: 0
; COMPUTE_PGM_RSRC3_GFX90A:ACCUM_OFFSET: 63
; COMPUTE_PGM_RSRC3_GFX90A:TG_SPLIT: 0
	.text
	.p2alignl 6, 3212836864
	.fill 256, 4, 3212836864
	.type	__hip_cuid_3d86d0272c59dcda,@object ; @__hip_cuid_3d86d0272c59dcda
	.section	.bss,"aw",@nobits
	.globl	__hip_cuid_3d86d0272c59dcda
__hip_cuid_3d86d0272c59dcda:
	.byte	0                               ; 0x0
	.size	__hip_cuid_3d86d0272c59dcda, 1

	.ident	"AMD clang version 19.0.0git (https://github.com/RadeonOpenCompute/llvm-project roc-6.4.0 25133 c7fe45cf4b819c5991fe208aaa96edf142730f1d)"
	.section	".note.GNU-stack","",@progbits
	.addrsig
	.addrsig_sym __hip_cuid_3d86d0272c59dcda
	.amdgpu_metadata
---
amdhsa.kernels:
  - .agpr_count:     72
    .args:
      - .actual_access:  read_only
        .address_space:  global
        .offset:         0
        .size:           8
        .value_kind:     global_buffer
      - .offset:         8
        .size:           8
        .value_kind:     by_value
      - .actual_access:  read_only
        .address_space:  global
        .offset:         16
        .size:           8
        .value_kind:     global_buffer
      - .actual_access:  read_only
        .address_space:  global
        .offset:         24
        .size:           8
        .value_kind:     global_buffer
      - .offset:         32
        .size:           8
        .value_kind:     by_value
      - .actual_access:  read_only
        .address_space:  global
        .offset:         40
        .size:           8
        .value_kind:     global_buffer
      - .actual_access:  read_only
        .address_space:  global
        .offset:         48
        .size:           8
        .value_kind:     global_buffer
      - .offset:         56
        .size:           4
        .value_kind:     by_value
      - .actual_access:  read_only
        .address_space:  global
        .offset:         64
        .size:           8
        .value_kind:     global_buffer
      - .actual_access:  read_only
        .address_space:  global
        .offset:         72
        .size:           8
        .value_kind:     global_buffer
      - .address_space:  global
        .offset:         80
        .size:           8
        .value_kind:     global_buffer
    .group_segment_fixed_size: 0
    .kernarg_segment_align: 8
    .kernarg_segment_size: 88
    .language:       OpenCL C
    .language_version:
      - 2
      - 0
    .max_flat_workgroup_size: 51
    .name:           fft_rtc_fwd_len595_factors_7_17_5_wgs_51_tpt_17_halfLds_dp_ip_CI_sbrr_dirReg
    .private_segment_fixed_size: 0
    .sgpr_count:     64
    .sgpr_spill_count: 0
    .symbol:         fft_rtc_fwd_len595_factors_7_17_5_wgs_51_tpt_17_halfLds_dp_ip_CI_sbrr_dirReg.kd
    .uniform_work_group_size: 1
    .uses_dynamic_stack: false
    .vgpr_count:     328
    .vgpr_spill_count: 0
    .wavefront_size: 64
amdhsa.target:   amdgcn-amd-amdhsa--gfx950
amdhsa.version:
  - 1
  - 2
...

	.end_amdgpu_metadata
